;; amdgpu-corpus repo=ROCm/Tensile kind=harvested arch=n/a opt=n/a

/******************************************/
/* Function Prefix                        */
/******************************************/



/******************************************/
/* Begin Kernel                           */
/******************************************/

// Component.Signature.SignatureDefault
.amdgcn_target "amdgcn-amd-amdhsa--gfx942"
.text
.protected Cijk_Alik_Bljk_HHS_BH_MT256x192x64_MI32x32x8x1_SN_1LDSB1_APM1_AF0EM8_AF1EM8_AMAS0_ASGT3256_ASLT_ASEM64_BL1_BS1_CLR0_DTVA0_DTVB0_ETSP_EPS1_ELFLR0_EMLL0_FSSC11_FL0_GLVWA8_GLVWB8_GRCGA1_GRCGB1_GRVW8_GSU1_GSUASB_GLS1_IU1_K1_LBSPPA128_LBSPPB128_LPA8_LPB8_LRVW8_MIAV0_MKFGSU256_NTA0_NTB0_NTC3_NTD3_NEPBS0_NLCA1_NLCB1_ONLL1_PK0_PGR2_PLR9_PKA0_SIA3_SS1_SU0_SUM0_SUS0_SPO0_SRVW0_SSO4_SVW1_TSGRA0_TSGRB0_TT4_96_TLDS1_UMLDSA1_UMLDSB1_USFGROn1_VAW1_VSn1_VW1_VWB1_VFLRP0_WSGRA0_WSGRB0_WG64_4_1_WGM32
.globl Cijk_Alik_Bljk_HHS_BH_MT256x192x64_MI32x32x8x1_SN_1LDSB1_APM1_AF0EM8_AF1EM8_AMAS0_ASGT3256_ASLT_ASEM64_BL1_BS1_CLR0_DTVA0_DTVB0_ETSP_EPS1_ELFLR0_EMLL0_FSSC11_FL0_GLVWA8_GLVWB8_GRCGA1_GRCGB1_GRVW8_GSU1_GSUASB_GLS1_IU1_K1_LBSPPA128_LBSPPB128_LPA8_LPB8_LRVW8_MIAV0_MKFGSU256_NTA0_NTB0_NTC3_NTD3_NEPBS0_NLCA1_NLCB1_ONLL1_PK0_PGR2_PLR9_PKA0_SIA3_SS1_SU0_SUM0_SUS0_SPO0_SRVW0_SSO4_SVW1_TSGRA0_TSGRB0_TT4_96_TLDS1_UMLDSA1_UMLDSB1_USFGROn1_VAW1_VSn1_VW1_VWB1_VFLRP0_WSGRA0_WSGRB0_WG64_4_1_WGM32
.p2align 8
.type Cijk_Alik_Bljk_HHS_BH_MT256x192x64_MI32x32x8x1_SN_1LDSB1_APM1_AF0EM8_AF1EM8_AMAS0_ASGT3256_ASLT_ASEM64_BL1_BS1_CLR0_DTVA0_DTVB0_ETSP_EPS1_ELFLR0_EMLL0_FSSC11_FL0_GLVWA8_GLVWB8_GRCGA1_GRCGB1_GRVW8_GSU1_GSUASB_GLS1_IU1_K1_LBSPPA128_LBSPPB128_LPA8_LPB8_LRVW8_MIAV0_MKFGSU256_NTA0_NTB0_NTC3_NTD3_NEPBS0_NLCA1_NLCB1_ONLL1_PK0_PGR2_PLR9_PKA0_SIA3_SS1_SU0_SUM0_SUS0_SPO0_SRVW0_SSO4_SVW1_TSGRA0_TSGRB0_TT4_96_TLDS1_UMLDSA1_UMLDSB1_USFGROn1_VAW1_VSn1_VW1_VWB1_VFLRP0_WSGRA0_WSGRB0_WG64_4_1_WGM32,@function
.section .rodata,#alloc
.p2align 6
.amdhsa_kernel Cijk_Alik_Bljk_HHS_BH_MT256x192x64_MI32x32x8x1_SN_1LDSB1_APM1_AF0EM8_AF1EM8_AMAS0_ASGT3256_ASLT_ASEM64_BL1_BS1_CLR0_DTVA0_DTVB0_ETSP_EPS1_ELFLR0_EMLL0_FSSC11_FL0_GLVWA8_GLVWB8_GRCGA1_GRCGB1_GRVW8_GSU1_GSUASB_GLS1_IU1_K1_LBSPPA128_LBSPPB128_LPA8_LPB8_LRVW8_MIAV0_MKFGSU256_NTA0_NTB0_NTC3_NTD3_NEPBS0_NLCA1_NLCB1_ONLL1_PK0_PGR2_PLR9_PKA0_SIA3_SS1_SU0_SUM0_SUS0_SPO0_SRVW0_SSO4_SVW1_TSGRA0_TSGRB0_TT4_96_TLDS1_UMLDSA1_UMLDSB1_USFGROn1_VAW1_VSn1_VW1_VWB1_VFLRP0_WSGRA0_WSGRB0_WG64_4_1_WGM32
  .amdhsa_user_sgpr_kernarg_segment_ptr 1
  .amdhsa_user_sgpr_kernarg_preload_offset 0
  .amdhsa_user_sgpr_kernarg_preload_length 0
  .amdhsa_user_sgpr_count 2
  .amdhsa_accum_offset 256 // accvgpr offset
  .amdhsa_next_free_vgpr 448 // vgprs
  .amdhsa_next_free_sgpr 70 // sgprs
  .amdhsa_group_segment_fixed_size 64512 // lds bytes
  .amdhsa_private_segment_fixed_size 0
  .amdhsa_system_sgpr_workgroup_id_x 1
  .amdhsa_system_sgpr_workgroup_id_y 1
  .amdhsa_system_sgpr_workgroup_id_z 1
  .amdhsa_system_vgpr_workitem_id 0
  .amdhsa_float_denorm_mode_32 3
  .amdhsa_float_denorm_mode_16_64 3
.end_amdhsa_kernel
.text

/******************************************/
/* Optimizations and Config:              */
/******************************************/
/* ThreadTile= 64 x 3 */
/* SubGroup= 4 x 64 */
/* VectorWidthA=1 */
/* VectorWidthB=1 */
/* GlobalLoadVectorWidthA=8, GlobalLoadVectorWidthB=8 */
/* DirectToLdsA=False */
/* DirectToLdsB=False */
/* UseSgprForGRO=1 */
.amdgpu_metadata
---
amdhsa.version:
  - 1
  - 1
amdhsa.target: amdgcn-amd-amdhsa--gfx942
amdhsa.kernels:
  - .name: Cijk_Alik_Bljk_HHS_BH_MT256x192x64_MI32x32x8x1_SN_1LDSB1_APM1_AF0EM8_AF1EM8_AMAS0_ASGT3256_ASLT_ASEM64_BL1_BS1_CLR0_DTVA0_DTVB0_ETSP_EPS1_ELFLR0_EMLL0_FSSC11_FL0_GLVWA8_GLVWB8_GRCGA1_GRCGB1_GRVW8_GSU1_GSUASB_GLS1_IU1_K1_LBSPPA128_LBSPPB128_LPA8_LPB8_LRVW8_MIAV0_MKFGSU256_NTA0_NTB0_NTC3_NTD3_NEPBS0_NLCA1_NLCB1_ONLL1_PK0_PGR2_PLR9_PKA0_SIA3_SS1_SU0_SUM0_SUS0_SPO0_SRVW0_SSO4_SVW1_TSGRA0_TSGRB0_TT4_96_TLDS1_UMLDSA1_UMLDSB1_USFGROn1_VAW1_VSn1_VW1_VWB1_VFLRP0_WSGRA0_WSGRB0_WG64_4_1_WGM32
    .symbol: 'Cijk_Alik_Bljk_HHS_BH_MT256x192x64_MI32x32x8x1_SN_1LDSB1_APM1_AF0EM8_AF1EM8_AMAS0_ASGT3256_ASLT_ASEM64_BL1_BS1_CLR0_DTVA0_DTVB0_ETSP_EPS1_ELFLR0_EMLL0_FSSC11_FL0_GLVWA8_GLVWB8_GRCGA1_GRCGB1_GRVW8_GSU1_GSUASB_GLS1_IU1_K1_LBSPPA128_LBSPPB128_LPA8_LPB8_LRVW8_MIAV0_MKFGSU256_NTA0_NTB0_NTC3_NTD3_NEPBS0_NLCA1_NLCB1_ONLL1_PK0_PGR2_PLR9_PKA0_SIA3_SS1_SU0_SUM0_SUS0_SPO0_SRVW0_SSO4_SVW1_TSGRA0_TSGRB0_TT4_96_TLDS1_UMLDSA1_UMLDSB1_USFGROn1_VAW1_VSn1_VW1_VWB1_VFLRP0_WSGRA0_WSGRB0_WG64_4_1_WGM32.kd'
    .language:                   OpenCL C
    .language_version:
      - 2
      - 0
    .args:
      - .name:            Tensor2dSizeA
        .size:            8
        .offset:          0
        .value_kind:      by_value
        .value_type:      u64
      - .name:            Tensor2dSizeB
        .size:            8
        .offset:          8
        .value_kind:      by_value
        .value_type:      u64
      - .name:            AddressD
        .size:            8
        .offset:          16
        .value_kind:      by_value
        .value_type:      u64
      - .name:            AddressC
        .size:            8
        .offset:          24
        .value_kind:      by_value
        .value_type:      u64
      - .name:            AddressA
        .size:            8
        .offset:          32
        .value_kind:      by_value
        .value_type:      u64
      - .name:            AddressB
        .size:            8
        .offset:          40
        .value_kind:      by_value
        .value_type:      u64
      - .name:            Alpha
        .size:            4
        .offset:          48
        .value_kind:      by_value
        .value_type:      u32
      - .name:            Beta
        .size:            4
        .offset:          52
        .value_kind:      by_value
        .value_type:      u32
      - .name:            StridesD
        .size:            8
        .offset:          56
        .value_kind:      by_value
        .value_type:      u64
      - .name:            StridesC
        .size:            8
        .offset:          64
        .value_kind:      by_value
        .value_type:      u64
      - .name:            StridesA
        .size:            8
        .offset:          72
        .value_kind:      by_value
        .value_type:      u64
      - .name:            StridesB
        .size:            8
        .offset:          80
        .value_kind:      by_value
        .value_type:      u64
      - .name:            SizesFree
        .size:            12
        .offset:          88
        .value_kind:      by_value
        .value_type:      u96
      - .name:            SizesSum
        .size:            4
        .offset:          100
        .value_kind:      by_value
        .value_type:      u32
      - .name:            NumWorkGroups0
        .size:            4
        .offset:          104
        .value_kind:      by_value
        .value_type:      u32
      - .name:            NumWorkGroups1
        .size:            4
        .offset:          108
        .value_kind:      by_value
        .value_type:      u32
      - .name:            NumFullBlocks
        .size:            4
        .offset:          112
        .value_kind:      by_value
        .value_type:      u32
      - .name:            WgmRemainder1
        .size:            4
        .offset:          116
        .value_kind:      by_value
        .value_type:      u32
      - .name:            MagicNumberWgmRemainder1
        .size:            4
        .offset:          120
        .value_kind:      by_value
        .value_type:      u32
    .group_segment_fixed_size:   64512
    .kernarg_segment_align:      8
    .kernarg_segment_size:       128
    .max_flat_workgroup_size:    256
    .private_segment_fixed_size: 0
    .sgpr_count:                 70
    .sgpr_spill_count:           0
    .vgpr_count:                 256
    .vgpr_spill_count:           0
    .wavefront_size:             64
...
.end_amdgpu_metadata
Cijk_Alik_Bljk_HHS_BH_MT256x192x64_MI32x32x8x1_SN_1LDSB1_APM1_AF0EM8_AF1EM8_AMAS0_ASGT3256_ASLT_ASEM64_BL1_BS1_CLR0_DTVA0_DTVB0_ETSP_EPS1_ELFLR0_EMLL0_FSSC11_FL0_GLVWA8_GLVWB8_GRCGA1_GRCGB1_GRVW8_GSU1_GSUASB_GLS1_IU1_K1_LBSPPA128_LBSPPB128_LPA8_LPB8_LRVW8_MIAV0_MKFGSU256_NTA0_NTB0_NTC3_NTD3_NEPBS0_NLCA1_NLCB1_ONLL1_PK0_PGR2_PLR9_PKA0_SIA3_SS1_SU0_SUM0_SUS0_SPO0_SRVW0_SSO4_SVW1_TSGRA0_TSGRB0_TT4_96_TLDS1_UMLDSA1_UMLDSB1_USFGROn1_VAW1_VSn1_VW1_VWB1_VFLRP0_WSGRA0_WSGRB0_WG64_4_1_WGM32:

/******************************************/
/* Asm syntax workarounds                 */
/******************************************/
.macro _v_add_co_u32 dst:req, cc:req, src0:req, src1:req, dpp=
   v_add_co_u32 \dst, \cc, \src0, \src1 \dpp
.endm

.macro _v_add_u32 dst:req, src0:req, src1:req, dpp=
   v_add_u32 \dst, \src0, \src1 \dpp
.endm

.macro _v_add_i32 dst:req, src0:req, src1:req, dpp=
   v_add_i32 \dst, \src0, \src1 \dpp
.endm

.macro _v_addc_co_u32 dst:req, ccOut:req, src0:req, ccIn:req, src1:req, dpp=
   v_addc_co_u32 \dst, \ccOut, \src0, \ccIn, \src1 \dpp
.endm

.macro _v_sub_co_u32 dst:req, cc:req, src0:req, src1:req, dpp=
   v_sub_co_u32 \dst, \cc, \src0, \src1 \dpp
.endm

.macro _v_sub_u32 dst:req, src0:req, src1:req, dpp=
   v_sub_u32 \dst, \src0, \src1 \dpp
.endm

.macro _v_sub_i32 dst:req, src0:req, src1:req, dpp=
   v_sub_i32 \dst, \src0, \src1 \dpp
.endm

.macro _v_add_lshl_u32 dst:req, src0:req, src1:req, shiftCnt:req
    v_add_lshl_u32 \dst, \src0, \src1, \shiftCnt
.endm

.macro _v_lshl_add_u32 dst:req, src0:req, src1:req, shiftCnt:req
    v_lshl_add_u32 \dst, \src0, \src1, \shiftCnt
.endm

.macro _v_lshl_or_b32 dst:req, src0:req, shiftCnt:req, src1:req
    v_lshl_or_b32 \dst, \src0, \shiftCnt, \src1
.endm

.macro _v_dot2acc_f32_f16 dst, src0, src1
v_dot2c_f32_f16 \dst, \src0, \src1
.endm

.macro _v_cmpx_lt_i16 dst, src0, src1=
   v_cmpx_lt_i16 \dst, \src0, \src1 
.endm

.macro _v_cmpx_lt_i32 dst, src0, src1=
   v_cmpx_lt_i32 \dst, \src0, \src1 
.endm

.macro _v_cmpx_lt_i64 dst, src0, src1=
   v_cmpx_lt_i64 \dst, \src0, \src1 
.endm

.macro _v_cmpx_lt_u16 dst, src0, src1=
   v_cmpx_lt_u16 \dst, \src0, \src1 
.endm

.macro _v_cmpx_lt_u32 dst, src0, src1=
   v_cmpx_lt_u32 \dst, \src0, \src1 
.endm

.macro _v_cmpx_lt_u64 dst, src0, src1=
   v_cmpx_lt_u64 \dst, \src0, \src1 
.endm

.macro _v_cmpx_eq_i16 dst, src0, src1=
   v_cmpx_eq_i16 \dst, \src0, \src1 
.endm

.macro _v_cmpx_eq_i32 dst, src0, src1=
   v_cmpx_eq_i32 \dst, \src0, \src1 
.endm

.macro _v_cmpx_eq_i64 dst, src0, src1=
   v_cmpx_eq_i64 \dst, \src0, \src1 
.endm

.macro _v_cmpx_eq_u16 dst, src0, src1=
   v_cmpx_eq_u16 \dst, \src0, \src1 
.endm

.macro _v_cmpx_eq_u32 dst, src0, src1=
   v_cmpx_eq_u32 \dst, \src0, \src1 
.endm

.macro _v_cmpx_eq_u64 dst, src0, src1=
   v_cmpx_eq_u64 \dst, \src0, \src1 
.endm

.macro _v_cmpx_le_i16 dst, src0, src1=
   v_cmpx_le_i16 \dst, \src0, \src1 
.endm

.macro _v_cmpx_le_i32 dst, src0, src1=
   v_cmpx_le_i32 \dst, \src0, \src1 
.endm

.macro _v_cmpx_le_i64 dst, src0, src1=
   v_cmpx_le_i64 \dst, \src0, \src1 
.endm

.macro _v_cmpx_le_u16 dst, src0, src1=
   v_cmpx_le_u16 \dst, \src0, \src1 
.endm

.macro _v_cmpx_le_u32 dst, src0, src1=
   v_cmpx_le_u32 \dst, \src0, \src1 
.endm

.macro _v_cmpx_le_u64 dst, src0, src1=
   v_cmpx_le_u64 \dst, \src0, \src1 
.endm

.macro _v_cmpx_gt_i16 dst, src0, src1=
   v_cmpx_gt_i16 \dst, \src0, \src1 
.endm

.macro _v_cmpx_gt_i32 dst, src0, src1=
   v_cmpx_gt_i32 \dst, \src0, \src1 
.endm

.macro _v_cmpx_gt_i64 dst, src0, src1=
   v_cmpx_gt_i64 \dst, \src0, \src1 
.endm

.macro _v_cmpx_gt_u16 dst, src0, src1=
   v_cmpx_gt_u16 \dst, \src0, \src1 
.endm

.macro _v_cmpx_gt_u32 dst, src0, src1=
   v_cmpx_gt_u32 \dst, \src0, \src1 
.endm

.macro _v_cmpx_gt_u64 dst, src0, src1=
   v_cmpx_gt_u64 \dst, \src0, \src1 
.endm

.macro _v_cmpx_ne_i16 dst, src0, src1=
   v_cmpx_ne_i16 \dst, \src0, \src1 
.endm

.macro _v_cmpx_ne_i32 dst, src0, src1=
   v_cmpx_ne_i32 \dst, \src0, \src1 
.endm

.macro _v_cmpx_ne_i64 dst, src0, src1=
   v_cmpx_ne_i64 \dst, \src0, \src1 
.endm

.macro _v_cmpx_ne_u16 dst, src0, src1=
   v_cmpx_ne_u16 \dst, \src0, \src1 
.endm

.macro _v_cmpx_ne_u32 dst, src0, src1=
   v_cmpx_ne_u32 \dst, \src0, \src1 
.endm

.macro _v_cmpx_ne_u64 dst, src0, src1=
   v_cmpx_ne_u64 \dst, \src0, \src1 
.endm

.macro _v_cmpx_lg_i16 dst, src0, src1=
   v_cmpx_lg_i16 \dst, \src0, \src1 
.endm

.macro _v_cmpx_lg_i32 dst, src0, src1=
   v_cmpx_lg_i32 \dst, \src0, \src1 
.endm

.macro _v_cmpx_lg_i64 dst, src0, src1=
   v_cmpx_lg_i64 \dst, \src0, \src1 
.endm

.macro _v_cmpx_lg_u16 dst, src0, src1=
   v_cmpx_lg_u16 \dst, \src0, \src1 
.endm

.macro _v_cmpx_lg_u32 dst, src0, src1=
   v_cmpx_lg_u32 \dst, \src0, \src1 
.endm

.macro _v_cmpx_lg_u64 dst, src0, src1=
   v_cmpx_lg_u64 \dst, \src0, \src1 
.endm

.macro _v_cmpx_ge_i16 dst, src0, src1=
   v_cmpx_ge_i16 \dst, \src0, \src1 
.endm

.macro _v_cmpx_ge_i32 dst, src0, src1=
   v_cmpx_ge_i32 \dst, \src0, \src1 
.endm

.macro _v_cmpx_ge_i64 dst, src0, src1=
   v_cmpx_ge_i64 \dst, \src0, \src1 
.endm

.macro _v_cmpx_ge_u16 dst, src0, src1=
   v_cmpx_ge_u16 \dst, \src0, \src1 
.endm

.macro _v_cmpx_ge_u32 dst, src0, src1=
   v_cmpx_ge_u32 \dst, \src0, \src1 
.endm

.macro _v_cmpx_ge_u64 dst, src0, src1=
   v_cmpx_ge_u64 \dst, \src0, \src1 
.endm

.macro _v_cmpx_o_i16 dst, src0, src1=
   v_cmpx_o_i16 \dst, \src0, \src1 
.endm

.macro _v_cmpx_o_i32 dst, src0, src1=
   v_cmpx_o_i32 \dst, \src0, \src1 
.endm

.macro _v_cmpx_o_i64 dst, src0, src1=
   v_cmpx_o_i64 \dst, \src0, \src1 
.endm

.macro _v_cmpx_o_u16 dst, src0, src1=
   v_cmpx_o_u16 \dst, \src0, \src1 
.endm

.macro _v_cmpx_o_u32 dst, src0, src1=
   v_cmpx_o_u32 \dst, \src0, \src1 
.endm

.macro _v_cmpx_o_u64 dst, src0, src1=
   v_cmpx_o_u64 \dst, \src0, \src1 
.endm

.macro _v_cmpx_u_i16 dst, src0, src1=
   v_cmpx_u_i16 \dst, \src0, \src1 
.endm

.macro _v_cmpx_u_i32 dst, src0, src1=
   v_cmpx_u_i32 \dst, \src0, \src1 
.endm

.macro _v_cmpx_u_i64 dst, src0, src1=
   v_cmpx_u_i64 \dst, \src0, \src1 
.endm

.macro _v_cmpx_u_u16 dst, src0, src1=
   v_cmpx_u_u16 \dst, \src0, \src1 
.endm

.macro _v_cmpx_u_u32 dst, src0, src1=
   v_cmpx_u_u32 \dst, \src0, \src1 
.endm

.macro _v_cmpx_u_u64 dst, src0, src1=
   v_cmpx_u_u64 \dst, \src0, \src1 
.endm
.macro _v_mac_f32 c:req, a:req, b:req
    v_fmac_f32 \c, \a, \b
.endmacro

/* scale global load macros */
.macro _s_load_b32 dst base offset
    s_load_dword \dst \base \offset
.endm

.macro _s_load_b64 dst base offset
    s_load_dwordx2 \dst \base \offset
.endm

.macro _s_load_b128 dst base offset
    s_load_dwordx4 \dst \base \offset
.endm

.macro _s_load_b256 dst base offset
    s_load_dwordx8 \dst \base \offset
.endm

.macro _s_load_b512 dst base offset
    s_load_dwordx16 \dst \base \offset
.endm


/* ds operation macros */
.macro _ds_load_u8 dst src offset
    ds_read_u8 \dst \src \offset
.endm

.macro _ds_load_u8_d16_hi dst src offset
    ds_read_u8_d16_hi \dst \src \offset
.endm

.macro _ds_load_u16 dst src offset
    ds_read_u16 \dst \src \offset
.endm

.macro _ds_load_u16_d16_hi dst src offset
    ds_read_u16_d16_hi \dst \src \offset
.endm

.macro _ds_load_b32 dst src offset
    ds_read_b32 \dst \src \offset
.endm

.macro _ds_load_b64 dst src offset
    ds_read_b64 \dst \src \offset
.endm

.macro _ds_load_b128 dst src offset
    ds_read_b128 \dst \src \offset
.endm

.macro _ds_store_b8 dst src offset
    ds_write_b8 \dst \src \offset
.endm

.macro _ds_store_b8_d16_hi dst src offset
    ds_write_b8_d16_hi \dst \src \offset
.endm

.macro _ds_store_b16 dst src offset
    ds_write_b16 \dst \src \offset
.endm

.macro _ds_store_b16_d16_hi dst src offset
    ds_write_b16_d16_hi \dst \src \offset
.endm

.macro _ds_store_b32 dst src offset
    ds_write_b32 \dst \src \offset
.endm

.macro _ds_store_b64 dst src offset
    ds_write_b64 \dst \src \offset
.endm

.macro _ds_store_b128 dst src offset
    ds_write_b128 \dst \src \offset
.endm

.macro _ds_load2_b32 dst src offset1 offset2
    ds_read2_b32 \dst \src \offset1 \offset2
.endm

.macro _ds_load2_b64 dst src offset1 offset2
    ds_read2_b64 \dst \src \offset1 \offset2
.endm

.macro _ds_store2_b32 dst src offset1 offset2
    ds_write2_b32 \dst \src \offset1 \offset2
.endm

.macro _ds_store2_b64 dst src offset1 offset2
    ds_write2_b64 \dst \src \offset1 \offset2
.endm


/* buffer memory operation macros */
.macro _buffer_load_b32 dst voffset base soffset offen ioffset md0 md1 md2
    buffer_load_dword \dst \voffset \base \soffset \offen \ioffset \md0 \md1 \md2
.endm

.macro _buffer_load_b64 dst voffset base soffset offen ioffset md0 md1 md2
    buffer_load_dwordx2 \dst \voffset \base \soffset \offen \ioffset \md0 \md1 \md2
.endm

.macro _buffer_load_b96 dst voffset base soffset offen ioffset md0 md1 md2
    buffer_load_dwordx3 \dst \voffset \base \soffset \offen \ioffset \md0 \md1 \md2
.endm

.macro _buffer_load_b128 dst voffset base soffset offen ioffset md0 md1 md2
    buffer_load_dwordx4 \dst \voffset \base \soffset \offen \ioffset \md0 \md1 \md2
.endm

.macro _buffer_load_d16_b16 dst voffset base soffset offen ioffset md0 md1 md2
    buffer_load_short_d16 \dst \voffset \base \soffset \offen \ioffset \md0 \md1 \md2
.endm

.macro _buffer_load_d16_hi_b16 dst voffset base soffset offen ioffset md0 md1 md2
    buffer_load_short_d16_hi \dst \voffset \base \soffset \offen \ioffset \md0 \md1 \md2
.endm

.macro _buffer_load_d16_u8 dst voffset base soffset offen ioffset md0 md1 md2
    buffer_load_ubyte_d16 \dst \voffset \base \soffset \offen \ioffset \md0 \md1 \md2
.endm

.macro _buffer_load_d16_hi_u8 dst voffset base soffset offen ioffset md0 md1 md2
    buffer_load_ubyte_d16_hi \dst \voffset \base \soffset \offen \ioffset \md0 \md1 \md2
.endm

.macro _buffer_load_u16 dst voffset base soffset offen ioffset md0 md1 md2
    buffer_load_ushort \dst \voffset \base \soffset \offen \ioffset \md0 \md1 \md2
.endm

.macro _buffer_load_b32_dtl voffset base soffset offen ioffset md0 md1 md2
    buffer_load_dword \voffset \base \soffset \offen \ioffset \md0 \md1 \md2
.endm

.macro _buffer_load_b64_dtl voffset base soffset offen ioffset md0 md1 md2
    buffer_load_dwordx2 \voffset \base \soffset \offen \ioffset \md0 \md1 \md2
.endm

.macro _buffer_load_b128_dtl voffset base soffset offen ioffset md0 md1 md2
    buffer_load_dwordx4 \voffset \base \soffset \offen \ioffset \md0 \md1 \md2
.endm

.macro _buffer_load_u16_dtl voffset base soffset offen ioffset md0 md1 md2
    buffer_load_ushort \voffset \base \soffset \offen \ioffset \md0 \md1 \md2
.endm

.macro _buffer_store_b32 src voffset base soffset offen ioffset md0 md1 md2
    buffer_store_dword \src \voffset \base \soffset \offen \ioffset \md0 \md1 \md2
.endm

.macro _buffer_store_b64 src voffset base soffset offen ioffset md0 md1 md2
    buffer_store_dwordx2 \src \voffset \base \soffset \offen \ioffset \md0 \md1 \md2
.endm

.macro _buffer_store_b96 src voffset base soffset offen ioffset md0 md1 md2
    buffer_store_dwordx3 \src \voffset \base \soffset \offen \ioffset \md0 \md1 \md2
.endm

.macro _buffer_store_b128 src voffset base soffset offen ioffset md0 md1 md2
    buffer_store_dwordx4 \src \voffset \base \soffset \offen \ioffset \md0 \md1 \md2
.endm

.macro _buffer_store_b16 src voffset base soffset offen ioffset md0 md1 md2
    buffer_store_short \src \voffset \base \soffset \offen \ioffset \md0 \md1 \md2
.endm

.macro _buffer_store_d16_hi_b16 src voffset base soffset offen ioffset md0 md1 md2
    buffer_store_short_d16_hi \src \voffset \base \soffset \offen \ioffset \md0 \md1 \md2
.endm

.macro _buffer_store_b8 src voffset base soffset offen ioffset md0 md1 md2
    buffer_store_byte \src \voffset \base \soffset \offen \ioffset \md0 \md1 \md2
.endm

.macro _buffer_store_d16_hi_b8 src voffset base soffset offen ioffset md0 md1 md2
    buffer_store_byte_d16_hi \src \voffset \base \soffset \offen \ioffset \md0 \md1 \md2
.endm

.macro _buffer_atomic_cmpswap_b32 dst voffset base soffset offen ioffset md0 md1 md2
    buffer_atomic_cmpswap \dst \voffset \base \soffset \offen \ioffset \md0 \md1 \md2
.endm

.macro _buffer_atomic_cmpswap_b64 dst voffset base soffset offen ioffset md0 md1 md2
    buffer_atomic_cmpswap_x2 \dst \voffset \base \soffset \offen \ioffset \md0 \md1 \md2
.endm


/* buffer memory operation macros */
.macro _global_load_b32 dst base src ioffset md0 md1 md2
    global_load_dword \dst \base \src \ioffset \md0 \md1 \md2
.endm

.macro _global_load_b64 dst base src ioffset md0 md1 md2
    global_load_dwordx2 \dst \base \src \ioffset \md0 \md1 \md2
.endm

.macro _global_load_b96 dst base src ioffset md0 md1 md2
    global_load_dwordx3 \dst \base \src \ioffset \md0 \md1 \md2
.endm

.macro _global_load_b128 dst base src ioffset md0 md1 md2
    global_load_dwordx4 \dst \base \src \ioffset \md0 \md1 \md2
.endm

.macro _global_load_d16_b16 dst base src ioffset md0 md1 md2
    global_load_short_d16 \dst \base \src \ioffset \md0 \md1 \md2
.endm

.macro _global_load_d16_hi_b16 dst base src ioffset md0 md1 md2
    global_load_short_d16_hi \dst \base \src \ioffset \md0 \md1 \md2
.endm

.macro _global_load_d16_u8 dst base src ioffset md0 md1 md2
    global_load_ubyte_d16 \dst \base \src \ioffset \md0 \md1 \md2
.endm

.macro _global_load_d16_hi_u8 dst base src ioffset md0 md1 md2
    global_load_ubyte_d16_hi \dst \base \src \ioffset \md0 \md1 \md2
.endm

.macro _global_load_u16 dst base src ioffset md0 md1 md2
    global_load_ushort \dst \base \src \ioffset \md0 \md1 \md2
.endm

.macro _global_store_b32 base src src2 md0 md1 md2
    global_store_dword \base \src \src2 \md0 \md1 \md2
.endm

.macro _global_store_b64 base src src2 md0 md1 md2
    global_store_dwordx2 \base \src \src2 \md0 \md1 \md2
.endm

.macro _global_store_b96 base src src2 md0 md1 md2
    global_store_dwordx3 \base \src \src2 \md0 \md1 \md2
.endm

.macro _global_store_b128 base src src2 md0 md1 md2
    global_store_dwordx4 \base \src \src2 \md0 \md1 \md2
.endm

.macro _global_store_d16_b16 base src src2 md0 md1 md2
    global_store_short \base \src \src2 \md0 \md1 \md2
.endm

.macro _global_store_d16_hi_b16 base src src2 md0 md1 md2
    global_store_short_d16_hi \base \src \src2 \md0 \md1 \md2
.endm

.macro _global_store_d16_u8 base src src2 md0 md1 md2
    global_store_ubyte_d16 \base \src \src2 \md0 \md1 \md2
.endm

.macro _global_store_d16_hi_u8 base src src2 md0 md1 md2
    global_store_ubyte_d16_hi \base \src \src2 \md0 \md1 \md2
.endm

.macro _global_store_u16 base src src2 md0 md1 md2
    global_store_ushort \base \src \src2 \md0 \md1 \md2
.endm

.macro _global_atomic_cmpswap_b32 tmp base data src ioffset md
    global_atomic_cmpswap \tmp \base \data \src \ioffset \md
.endm

.macro _global_atomic_cmpswap_b64 tmp base data src ioffset md
    global_atomic_cmpswap_x2 \tmp \base \data \src \ioffset \md
.endm


/******************************************/
/* Magic div and mod functions            */
/******************************************/
.macro V_MAGIC_DIV dstIdx:req, dividend:req, magicNumber:req, magicShift:req, magicA:req
    v_mul_hi_u32 v[\dstIdx+1], \dividend, \magicNumber
    v_mul_lo_u32 v[\dstIdx+0], \dividend, \magicA
    _v_add_u32 v[\dstIdx+0], v[\dstIdx+0], v[\dstIdx+1]
    v_lshrrev_b32 v[\dstIdx+0], \magicShift, v[\dstIdx+0]
.endm

/******************************************/
/* VGPR Assignments                       */
/******************************************/
/* ValuC range: [0-0), serializedStore enabled */
.set vgprValuC, 0
/* ValuA/B   Xn=PLR buffer idx,  In=InnerUnroll idx */
.set vgprValuA_X0_I0, 0
.set vgprValuA_X1_I0, 8
.set vgprValuA_X2_I0, 16
.set vgprValuA_X3_I0, 24
.set vgprValuA_X4_I0, 32
.set vgprValuA_X5_I0, 40
.set vgprValuA_X6_I0, 48
.set vgprValuA_X7_I0, 56
.set vgprG2LA, 116
.set vgprValuB_X0_I0, 64
.set vgprValuB_X1_I0, 70
.set vgprValuB_X2_I0, 76
.set vgprValuB_X3_I0, 82
.set vgprValuB_X4_I0, 88
.set vgprValuB_X5_I0, 94
.set vgprValuB_X6_I0, 100
.set vgprValuB_X7_I0, 106
.set vgprG2LB, 148
.set vgprLocalWriteAddrA, 112
.set vgprLocalWriteAddrB, 113
.set vgprGlobalReadOffsetA, 114
.set vgprGlobalReadOffsetB, 115
.set vgprLocalReadAddrA, 172
.set vgprLocalReadAddrB, 173
.set vgprSerial, 174
/* Num VGPR=256 */
/* Num AccVGPR=192 */

/******************************************/
/* SGPR Assignments                       */
/******************************************/
.set sgprKernArgAddress, 0 // (2)
.set sgprWorkGroup0, 2 // (1)
.set sgprWorkGroup1, 3 // (1)
.set sgprWorkGroup2, 4 // (1)
.set sgprLoopCounterL, 5 // (1)
.set sgprOrigLoopCounter, 6 // (1)
.set sgprSrdA, 8 // (4)
.set sgprSrdB, 12 // (4)
.set sgprSrdD, 16 // (4)
.set sgprSrdC, 20 // (4)
.set sgprTensor2dSizeA, 24 // (2)
.set sgprTensor2dSizeB, 26 // (2)
.set sgprAddressD, 28 // (2)
.set sgprAddressC, 30 // (2)
.set sgprAddressA, 32 // (2)
.set sgprAddressB, 34 // (2)
.set sgprAlpha, 36 // (1)
.set sgprBeta, 37 // (1)
.set sgprStridesD, 38 // (2)
.set sgprStridesC, 40 // (2)
.set sgprStridesA, 42 // (2)
.set sgprStridesB, 44 // (2)
.set sgprSizesFree, 46 // (3)
.set sgprSizesSum, 49 // (1)
.set sgprNumWorkGroups0, 50 // (1)
.set sgprNumWorkGroups1, 51 // (1)
.set sgprNumFullBlocks, 52 // (1)
.set sgprWgmRemainder1, 53 // (1)
.set sgprMagicNumberWgmRemainder1, 54 // (1)
.set sgprShadowLimitA, 0 // (2)
.set sgprShadowLimitB, 28 // (2)
.set sgprGlobalReadIncsA, 7 // (1)
.set sgprGlobalReadIncsB, 30 // (1)
.set sgprScalarGlobalReadOffsetA, 58 // (7)
.set sgprScalarGlobalReadOffsetB, 31 // (5)
/* max SGPR=70 */

/* Size Assignments */
.set sgprSizeI, sgprSizesFree+0
.set sgprSizeJ, sgprSizesFree+1
.set sgprSizeK, sgprSizesFree+2
.set sgprSizeL, sgprSizesSum+0

/* Stride Assignments */
.set constStrideD0I, 1
.set sgprStrideD1J, sgprStridesD+0
.set sgprStrideDK, sgprStridesD+1
.set constStrideC0I, 1
.set sgprStrideC1J, sgprStridesC+0
.set sgprStrideCK, sgprStridesC+1
.set constStrideAL, 1
.set sgprStrideA0I, sgprStridesA+0
.set sgprStrideAK, sgprStridesA+1
.set constStrideBL, 1
.set sgprStrideB1J, sgprStridesB+0
.set sgprStrideBK, sgprStridesB+1

.set MT0, 256
.set MT1, 192
.set DepthU, 64
.set GSU, 1
.set BpeA, 2
.set BpeALog2, 1
.set BpeB, 2
.set BpeBLog2, 1
/* Number of elements to shift-left SRD */
.set SrdShiftLeftA, 8
.set SrdShiftLeftB, 8
/* 2GB limit - set offsets to -1 to exceed this and clamp */
.set BufferLimitA, 0xffffffff
.set BufferLimitB, 0xffffffff
.set BufferOOB, 0xfffff000

/******************************************/
/* Bits 127:96 of SRD.                    */
/* hex: 0x00020000                        */
/* dst_sel_x (3b): 0                      */
/* dst_sel_y (3b): 0                      */
/* dst_sel_z (3b): 0                      */
/* dst_sel_w (3b): 0                      */
/* num_format (3b): 0                     */
/* data_format (4b): 4                    */
/* user_vm_enable (1b): 0                 */
/* user_vm_mode (1b): 0                   */
/* index_stride (2b): 0                   */
/* add_tid_enable (1b): 0                 */
/* _unusedA (3b): 0                       */
/* nv (1b): 0                             */
/* _unusedB (2b): 0                       */
/* type (2b): 0                           */
/******************************************/
.set Srd127_96, 0x00020000

/* Global Offset A */
.macro GLOBAL_OFFSET_A vgprAddr:req vgprOffsetL:req vgprOffset0I:req vgprTmp:req
v_mul_lo_u32 v[\vgprTmp+0], s[sgprStrideA0I], v[\vgprOffset0I] // mul d1 lower
_v_add_co_u32 v[\vgprAddr+0], vcc, v[\vgprOffsetL], v[\vgprTmp+0] // accumulate K lower
_v_add_u32 v[\vgprAddr+0], 0x8, v[\vgprAddr+0]     // add prepad for pointer shift
v_lshlrev_b32 v[\vgprAddr+0], 0x1, v[\vgprAddr+0]  // offset *= bytes/element
.endm

/* Global Offset B */
.macro GLOBAL_OFFSET_B vgprAddr:req vgprOffsetL:req vgprOffset1J:req vgprTmp:req
v_mul_lo_u32 v[\vgprTmp+0], s[sgprStrideB1J], v[\vgprOffset1J] // mul d1 lower
_v_add_co_u32 v[\vgprAddr+0], vcc, v[\vgprOffsetL], v[\vgprTmp+0] // accumulate K lower
_v_add_u32 v[\vgprAddr+0], 0x8, v[\vgprAddr+0]     // add prepad for pointer shift
v_lshlrev_b32 v[\vgprAddr+0], 0x1, v[\vgprAddr+0]  // offset *= bytes/element
.endm

/******************************************/
/* Dynamic Scalar Divide: vQuotient=vDividend/vDivisor; vRemainder=vDividend%vDivisor; */
/******************************************/
.macro DYNAMIC_VECTOR_DIVIDE vQuotient vRemainder vDividend vDivisor vTmp0 vTmp1 sTmp
v_cvt_f32_u32 v[\vQuotient], v[\vDivisor]          // 
v_rcp_f32 v[\vQuotient], v[\vQuotient]             // 
v_mul_f32 v[\vQuotient], 0x4f800000, v[\vQuotient] // 
v_cvt_u32_f32 v[\vQuotient], v[\vQuotient]         // 
v_mul_lo_u32 v[\vRemainder], v[\vDivisor], v[\vQuotient] // 
v_mul_hi_u32 v[\vTmp0], v[\vDivisor], v[\vQuotient] // 
_v_sub_co_u32 v[\vTmp1], vcc, 0x0, v[\vRemainder]  // 
v_cmp_ne_i32 s[\sTmp:\sTmp+1], 0x0, v[\vTmp0]      // 
v_cndmask_b32 v[\vRemainder], v[\vTmp1], v[\vRemainder], s[\sTmp:\sTmp+1] // 
v_mul_hi_u32 v[\vRemainder], v[\vRemainder], v[\vQuotient] // 
_v_sub_co_u32 v[\vTmp0], vcc, v[\vQuotient], v[\vRemainder] // 
_v_add_co_u32 v[\vQuotient], vcc, v[\vQuotient], v[\vRemainder] // 
v_cndmask_b32 v[\vQuotient], v[\vQuotient], v[\vTmp0], s[\sTmp:\sTmp+1] // 
v_mul_hi_u32 v[\vQuotient], v[\vQuotient], v[\vDividend] // 
v_mul_lo_u32 v[\vRemainder], v[\vQuotient], v[\vDivisor] // 
_v_sub_co_u32 v[\vTmp0], vcc, v[\vDividend], v[\vRemainder] // 
v_cmp_ge_u32 s[\sTmp:\sTmp+1], v[\vDividend], v[\vRemainder] // 
_v_add_co_u32 v[\vRemainder], vcc, 0x1, v[\vQuotient] // 
_v_add_co_u32 v[\vTmp1], vcc, -1, v[\vQuotient]    // 
v_cmp_le_u32 vcc, v[\vDivisor], v[\vTmp0]          // 
s_and_b64 vcc, s[\sTmp:\sTmp+1], vcc               // 
v_cndmask_b32 v[\vQuotient], v[\vQuotient], v[\vRemainder], vcc // 
v_cndmask_b32 v[\vQuotient], v[\vTmp1], v[\vQuotient], s[\sTmp:\sTmp+1] // 
v_cmp_ne_i32 vcc, 0x0, v[\vDivisor]                // 
v_cndmask_b32 v[\vQuotient], -1, v[\vQuotient], vcc // final result
v_mul_lo_u32 v[\vRemainder], v[\vQuotient], v[\vDivisor] // 
_v_sub_co_u32 v[\vRemainder], vcc, v[\vDividend], v[\vRemainder] // final result
.endm


	;; [unrolled: 1-line block ×3, first 2 shown]
/******************************************/
/* Allocate Resources                     */
/******************************************/

Cijk_Alik_Bljk_HHS_BH_MT256x192x64_MI32x32x8x1_SN_1LDSB1_APM1_AF0EM8_AF1EM8_AMAS0_ASGT3256_ASLT_ASEM64_BL1_BS1_CLR0_DTVA0_DTVB0_ETSP_EPS1_ELFLR0_EMLL0_FSSC11_FL0_GLVWA8_GLVWB8_GRCGA1_GRCGB1_GRVW8_GSU1_GSUASB_GLS1_IU1_K1_LBSPPA128_LBSPPB128_LPA8_LPB8_LRVW8_MIAV0_MKFGSU256_NTA0_NTB0_NTC3_NTD3_NEPBS0_NLCA1_NLCB1_ONLL1_PK0_PGR2_PLR9_PKA0_SIA3_SS1_SU0_SUM0_SUS0_SPO0_SRVW0_SSO4_SVW1_TSGRA0_TSGRB0_TT4_96_TLDS1_UMLDSA1_UMLDSB1_USFGROn1_VAW1_VSn1_VW1_VWB1_VFLRP0_WSGRA0_WSGRB0_WG64_4_1_WGM32_preloaded: // Kernel start when preloading

/* Load Kernel Args */
_s_load_b512 s[24:39], s[sgprKernArgAddress:sgprKernArgAddress+1], 0x0 // 
_s_load_b256 s[40:47], s[sgprKernArgAddress:sgprKernArgAddress+1], 0x40 // 
_s_load_b128 s[48:51], s[sgprKernArgAddress:sgprKernArgAddress+1], 0x60 // 
_s_load_b64 s[52:53], s[sgprKernArgAddress:sgprKernArgAddress+1], 0x70 // 
_s_load_b32 s54, s[sgprKernArgAddress:sgprKernArgAddress+1], 0x78 // 
s_mov_b32 m0, 0xfc00                               // LDS clamp at 64512 bytes
v_mov_b32 v[vgprSerial], v0                        // thread serial id

/******************************************/
/* Local Read Addresses                   */
/******************************************/


/* local read addresses: tile assignments a/b */

/*lr0I*/
v_and_b32 v1, 63, v[vgprSerial]                    // 0. thread id in wave: wtid = tid % wavelength(64)
v_and_b32 v0, 31, v1                               // 1. N offset: nIdx = wtid % MI_N(32)
v_lshlrev_b32 v0, 0x6, v0                          // 1. N offset: nOffset = nIdx * nStride(64)
                                                   // 2. block offset: bnIdx = bnIdx % num1DBlocks(1) is 0. do nothing
                                                   // 4. apply VectorWidth: bnOffset = bnOffset * vw(1) (multiplier is 1, do nothing)
v_lshrrev_b32 v1, 5, v1                            // 5. K offset: kIdx = wtid / (MIN(32) * MIBB(1))
v_lshlrev_b32 v1, 0x3, v1                          // 5. K offset: lrKOffset = kIdx * mStride(8)
_v_add_u32 v0, v1, v0                              // 6. offset in wave: lrOffset = bnOffset + lrKOffset
v_lshrrev_b32 v2, 6, v[vgprSerial]                 // 7. wave offset in N dimen: wtid = tid / dividedForWaveId(64)
v_and_b32 v1, 1, v2                                // 7. wave offset in M dimen: wtid0 = wtid / num1DWaves(2)
v_lshlrev_b32 v1, 0xb, v1                          // 7. wave offset in M dimen: wOffset = wtid0 * W0Stride(2048)
_v_add_u32 v0, v1, v0                              // 8. final local read offset: flrOffset = lrOffset + WOffset
/*lr1J*/
v_and_b32 v2, 63, v[vgprSerial]                    // 0. thread id in wave: wtid = tid % wavelength(64)
v_and_b32 v1, 31, v2                               // 1. N offset: nIdx = wtid % MI_N(32)
v_lshlrev_b32 v1, 0x6, v1                          // 1. N offset: nOffset = nIdx * nStride(64)
                                                   // 2. block offset: bnIdx = bnIdx % num1DBlocks(1) is 0. do nothing
                                                   // 4. apply VectorWidth: bnOffset = bnOffset * vw(1) (multiplier is 1, do nothing)
v_lshrrev_b32 v2, 5, v2                            // 5. K offset: kIdx = wtid / (MIN(32) * MIBB(1))
v_lshlrev_b32 v2, 0x3, v2                          // 5. K offset: lrKOffset = kIdx * mStride(8)
_v_add_u32 v1, v2, v1                              // 6. offset in wave: lrOffset = bnOffset + lrKOffset
v_lshrrev_b32 v3, 7, v[vgprSerial]                 // 7. wave offset in N dimen: wtid = tid / dividedForWaveId(128)
v_and_b32 v2, 1, v3                                // 7. wave offset in M dimen: wtid0 = wtid / num1DWaves(2)
v_lshlrev_b32 v2, 0xb, v2                          // 7. wave offset in M dimen: wOffset = wtid0 * W0Stride(2048)
_v_add_u32 v1, v2, v1                              // 8. final local read offset: flrOffset = lrOffset + WOffset


/* local read addresses: final offsets a */

v_lshlrev_b32 v[vgprLocalReadAddrA], 0x1, v0       // Final Offset: offset = (lro0)*bpe
v_lshrrev_b32 v0, 7, v[vgprLocalReadAddrA]         // Final Offset: padding 8 per block 128
v_lshlrev_b32 v0, 0x4, v0                          // Final Offset: padding 8 per block 128
_v_add_u32 v[vgprLocalReadAddrA], v0, v[vgprLocalReadAddrA] // Final Offset: add padding 8 per block 128


/* local read addresses: final offsets b */

v_lshlrev_b32 v[vgprLocalReadAddrB], 0x1, v1       // Final Offset: offset = (lro1)*bpe
v_lshrrev_b32 v0, 7, v[vgprLocalReadAddrB]         // Final Offset: padding 8 per block 128
v_lshlrev_b32 v0, 0x4, v0                          // Final Offset: padding 8 per block 128
_v_add_u32 v[vgprLocalReadAddrB], v0, v[vgprLocalReadAddrB] // Final Offset: add padding 8 per block 128


/* local read addresses: declare addresses a */

/* N/A */


/* local read addresses: declare addresses b */

_v_add_co_u32 v[vgprLocalReadAddrB+0], vcc, 0x9000, v[vgprLocalReadAddrB+0] //  += LdsOffsetB (lower)


/* global read addresses: tile offset assignment a */

/* LVCA = 8 */
/* v0 = (local)groA-tile = serial/LVCA (note (wgA*MTA) will be added to SRD) */
/* v1 = groA-unroll = serial%LVCA */
v_lshrrev_b32 v0, 3, v[vgprSerial]                 // v0 = v[vgprSerial] / 8
v_and_b32 v1, 7, v[vgprSerial]                     // v1 = v[vgprSerial] % 8
/* gro-unroll *= glvw */
v_lshlrev_b32 v1, 0x3, v1                          // v1 = v1 * 8


/* global read addresses: tile offset assignment b */

/* LVCB = 8 */
/* v2 = (local)groB-tile = serial/LVCB (note (wgB*MTB) will be added to SRD) */
/* v3 = groB-unroll = serial%LVCB */
v_lshrrev_b32 v2, 3, v[vgprSerial]                 // v2 = v[vgprSerial] / 8
v_and_b32 v3, 7, v[vgprSerial]                     // v3 = v[vgprSerial] % 8
/* gro-unroll *= glvw */
v_lshlrev_b32 v3, 0x3, v3                          // v3 = v3 * 8


/******************************************/
/* Local Write Addresses                  */
/******************************************/

/* lwaTileAssignmentA = v0 */

/* lwaTileAssignmentB = v2 */

/* lwaUnrollAssignmentA = v1 */

/* lwaUnrollAssignmentB = v3 */


/* local write addresses: first offset a */

v_mul_u32_u24 v[vgprLocalWriteAddrA], 0x40, v0     // lwAL**(DepthU_Compute + PAD)
_v_add_lshl_u32 v[vgprLocalWriteAddrA], v1, v[vgprLocalWriteAddrA], 0x1 // lwFOA = (lwAA + lwAL*(DepthU+PAD))*bpe
v_lshrrev_b32 v4, 7, v[vgprLocalWriteAddrA]        // padding 8 per block 128
v_lshlrev_b32 v4, 0x4, v4                          // padding 8 per block 128
_v_add_u32 v[vgprLocalWriteAddrA], v4, v[vgprLocalWriteAddrA] // add padding 8 per block 128


/* local write addresses: first offset b */

v_mul_u32_u24 v[vgprLocalWriteAddrB], 0x40, v2     // lwBL**(DepthU_Compute + PAD)
_v_add_lshl_u32 v[vgprLocalWriteAddrB], v3, v[vgprLocalWriteAddrB], 0x1 // lwFOB = (lwBB + lwBL*(DepthU+PAD))*bpe
v_lshrrev_b32 v4, 7, v[vgprLocalWriteAddrB]        // padding 8 per block 128
v_lshlrev_b32 v4, 0x4, v4                          // padding 8 per block 128
_v_add_u32 v[vgprLocalWriteAddrB], v4, v[vgprLocalWriteAddrB] // add padding 8 per block 128
_v_add_co_u32 v[vgprLocalWriteAddrB], vcc, 0x9000, v[vgprLocalWriteAddrB] // lwFOB = lwB1J + lwBL*MT1J + LDS_OFFSET_B=18432*2


	;; [unrolled: 1-line block ×7, first 2 shown]
s_waitcnt lgkmcnt(0)                               // wait for 124 bytes of kern args
s_mov_b64 s[sgprSrdC+0:sgprSrdC+0+1], s[sgprAddressC+0:sgprAddressC+0+1] // copy addressC
s_mov_b64 s[sgprSrdD+0:sgprSrdD+0+1], s[sgprAddressD+0:sgprAddressD+0+1] // copy addressD
s_sub_u32 s[sgprSrdA+0], s[sgprAddressA+0], 16     // pre-pad to make room for possible pointer shift
s_subb_u32 s[sgprSrdA+1], s[sgprAddressA+1], 0     // pre-pad to make room for possible pointer shift
s_sub_u32 s[sgprSrdB+0], s[sgprAddressB+0], 16     // pre-pad to make room for possible pointer shift
s_subb_u32 s[sgprSrdB+1], s[sgprAddressB+1], 0     // pre-pad to make room for possible pointer shift

.set AddressD, UNDEF
.set AddressC, UNDEF
.set AddressA, UNDEF
.set AddressB, UNDEF

/* Short circuit condition if Alpha == 0, then sumDims=0 */
v_cmp_eq_f32 vcc, s[sgprAlpha], 0.0                // Alpha == 0.0f ?
s_cbranch_vccz label_AlphaNonZero                  // branch if alpha != 0
s_mov_b32 s[sgprSizesSum+0], 0x0                   // Set summation dim=0 if Alpha == 0
label_AlphaNonZero:


	;; [unrolled: 1-line block ×3, first 2 shown]
/******************************************/
/* Begin setupNewTile, isPap=False           */
/******************************************/


/* global read addresses: work-group */

/* graWorkGroup mapping */
s_mov_b32 s69, 0x4000001L                          // magic number for WGM==32
s_mul_hi_u32 s67, s[sgprWorkGroup1], s69           // s_magic mul
s_mul_i32 s66, s[sgprWorkGroup1], s69              // s_magic mul
s_lshr_b64 s[66:67], s[66:67], 31                  // sMagicDiv
s_mul_i32 s67, s66, 32                             // quotient * non-magic divisor
s_sub_u32 s67, s[sgprWorkGroup1], s67              // WorkGroup1=remainder
s_mul_i32 s67, s67, s[sgprNumWorkGroups0]          // (wg1 % WGM)*nwg0
s_add_u32 s67, s67, s[sgprWorkGroup0]              // wgSerial = wg0 + (wg1 % WGM)*nwg1
s_cmp_ge_u32 s66, s[sgprNumFullBlocks]             // blockId >= numFullBlocks ?
s_cmov_b32 s69, s[sgprMagicNumberWgmRemainder1]    // 
s_cselect_b32 s68, s[sgprWgmRemainder1], 32        // 
s_mul_hi_u32 s3, s67, s69                          // s_magic mul
s_mul_i32 s2, s67, s69                             // s_magic mul
s_lshr_b64 s[2:3], s[2:3], 31                      // sMagicDiv
s_mul_i32 s[sgprWorkGroup1], s[sgprWorkGroup0], s68 // quotient * non-magic divisor
s_sub_u32 s[sgprWorkGroup1], s67, s[sgprWorkGroup1] // WorkGroup1=remainder
s_mul_i32 s66, s66, 32                             // blockId * WGM
s_add_u32 s[sgprWorkGroup1], s[sgprWorkGroup1], s66 // wg1 += blockId * WGM


/* global read addresses: unroll assignment a */

/* v1 */


/* global read addresses: unroll assignment b */

/* v3 */


/* global read addresses: other free assignments */

/* s[sgprWorkGroup2] */


/* global read addresses: tile offsets a */


	;; [unrolled: 1-line block ×3, first 2 shown]
/* global read addresses: tile offsets b */



/* global read addresses: unroll offsets a */


	;; [unrolled: 1-line block ×3, first 2 shown]
/* global read addresses: unroll offsets b */


	;; [unrolled: 1-line block ×3, first 2 shown]
/* global read addresses: final offsets a */

GLOBAL_OFFSET_A vgprGlobalReadOffsetA+0,  1,  0, 4 // gROA_0_0_0_0
s_mul_i32 s[sgprScalarGlobalReadOffsetA+0], s[sgprStrideA0I], 32 // compute offset diff (scaled tileDim)
s_lshl_b32 s[sgprScalarGlobalReadOffsetA+0], s[sgprScalarGlobalReadOffsetA+0], 0x1 // scalar offset *= bytes/element
s_mul_i32 s[sgprScalarGlobalReadOffsetA+1], s[sgprStrideA0I], 64 // compute offset diff (scaled tileDim)
s_lshl_b32 s[sgprScalarGlobalReadOffsetA+1], s[sgprScalarGlobalReadOffsetA+1], 0x1 // scalar offset *= bytes/element
	;; [unrolled: 2-line block ×7, first 2 shown]


/* global read addresses: final offsets b */

GLOBAL_OFFSET_B vgprGlobalReadOffsetB+0,  3,  2, 4 // gROB_0_0_0_0
s_mul_i32 s[sgprScalarGlobalReadOffsetB+0], s[sgprStrideB1J], 32 // compute offset diff (scaled tileDim)
s_lshl_b32 s[sgprScalarGlobalReadOffsetB+0], s[sgprScalarGlobalReadOffsetB+0], 0x1 // scalar offset *= bytes/element
s_mul_i32 s[sgprScalarGlobalReadOffsetB+1], s[sgprStrideB1J], 64 // compute offset diff (scaled tileDim)
s_lshl_b32 s[sgprScalarGlobalReadOffsetB+1], s[sgprScalarGlobalReadOffsetB+1], 0x1 // scalar offset *= bytes/element
	;; [unrolled: 2-line block ×5, first 2 shown]


/* global read addresses: addresses a */

/* max read offset = size[n] * stride[n-1] */
s_mul_hi_u32 s69, s[sgprWorkGroup0], 256           // WorkGroup[01] * MT
s_mul_i32 s68, s[sgprWorkGroup0], 256              // WorkGroup[01] * MT
s_mul_hi_u32 s69, s68, s[sgprStrideA0I]            // tlu=0, scaled tile-offset by stride
s_mul_i32 s68, s68, s[sgprStrideA0I]               // tlu=0, scaled tile-offset by stride
s_sub_u32 s[sgprShadowLimitA+0], s[sgprTensor2dSizeA], s68 // sub tileStart
s_subb_u32 s[sgprShadowLimitA+1], s[sgprTensor2dSizeA+1], s69 // sub tileStart
s_lshl_b64 s[sgprShadowLimitA:sgprShadowLimitA+1], s[sgprShadowLimitA:sgprShadowLimitA+1], 0x1 // Set limit to use bytes
s_add_u32 s[sgprShadowLimitA+0], s[sgprShadowLimitA+0], 16 // extend limit for pre-pad
s_addc_u32 s[sgprShadowLimitA+1], s[sgprShadowLimitA+1], 0 // extend limit for pre-pad
s_cmp_eq_u32 s[sgprShadowLimitA+1], 0              // are we within 2^32?
s_cselect_b32 s[sgprSrdA+2], s[sgprShadowLimitA+0], BufferLimitA // Move shadow to real if we are within 2^32
s_mul_hi_u32 s67, s[sgprStrideAK], s[sgprWorkGroup2] // Stride*WG
s_mul_i32 s66, s[sgprStrideAK], s[sgprWorkGroup2]  // Stride*WG
s_add_u32 s68, s68, s66                            // accum wg term to tilestart
s_addc_u32 s69, s69, s67                           // accum wg term to tilestart
s_lshl_b64 s[68:69], s[68:69], 0x1                 // tileStart *= BPE
s_add_u32 s[sgprSrdA+0], s[sgprSrdA+0], s68        // SRD base = Address+ tileStart0
s_addc_u32 s[sgprSrdA+1], s[sgprSrdA+1], s69       // SRD base = Address+ tileStart1
s_mov_b32 s[sgprSrdA+3], Srd127_96                 // Set bits 127_96 in SRD


/* global read addresses: addresses b */

/* max read offset = size[n] * stride[n-1] */
s_mul_hi_u32 s69, s[sgprWorkGroup1], 192           // WorkGroup[01] * MT
s_mul_i32 s68, s[sgprWorkGroup1], 192              // WorkGroup[01] * MT
s_mul_hi_u32 s69, s68, s[sgprStrideB1J]            // tlu=0, scaled tile-offset by stride
s_mul_i32 s68, s68, s[sgprStrideB1J]               // tlu=0, scaled tile-offset by stride
s_sub_u32 s[sgprShadowLimitB+0], s[sgprTensor2dSizeB], s68 // sub tileStart
s_subb_u32 s[sgprShadowLimitB+1], s[sgprTensor2dSizeB+1], s69 // sub tileStart
s_lshl_b64 s[sgprShadowLimitB:sgprShadowLimitB+1], s[sgprShadowLimitB:sgprShadowLimitB+1], 0x1 // Set limit to use bytes
s_add_u32 s[sgprShadowLimitB+0], s[sgprShadowLimitB+0], 16 // extend limit for pre-pad
s_addc_u32 s[sgprShadowLimitB+1], s[sgprShadowLimitB+1], 0 // extend limit for pre-pad
s_cmp_eq_u32 s[sgprShadowLimitB+1], 0              // are we within 2^32?
s_cselect_b32 s[sgprSrdB+2], s[sgprShadowLimitB+0], BufferLimitB // Move shadow to real if we are within 2^32
s_mul_hi_u32 s67, s[sgprStrideBK], s[sgprWorkGroup2] // Stride*WG
s_mul_i32 s66, s[sgprStrideBK], s[sgprWorkGroup2]  // Stride*WG
s_add_u32 s68, s68, s66                            // accum wg term to tilestart
s_addc_u32 s69, s69, s67                           // accum wg term to tilestart
s_lshl_b64 s[68:69], s[68:69], 0x1                 // tileStart *= BPE
s_add_u32 s[sgprSrdB+0], s[sgprSrdB+0], s68        // SRD base = Address+ tileStart0
s_addc_u32 s[sgprSrdB+1], s[sgprSrdB+1], s69       // SRD base = Address+ tileStart1
s_mov_b32 s[sgprSrdB+3], Srd127_96                 // Set bits 127_96 in SRD


/* global read addresses: increments a */

s_mov_b32 s[sgprGlobalReadIncsA+0], DepthU*BpeA    // incrA (unrollIdx)


/* global read addresses: increments b */

s_mov_b32 s[sgprGlobalReadIncsB+0], DepthU*BpeB    // incrB (unrollIdx)

/* declare loop num iterations */


s_lshr_b32 s[sgprLoopCounterL], s[sgprSizesSum+0], 6 // s[sgprLoopCounterL] = s[sgprSizesSum+0] / 64
s_mov_b32 s[sgprOrigLoopCounter], s[sgprLoopCounterL] // copy loop counter

/* local read addresses: init pointers a */


/* localReadInitPointers */

/* local read addresses: init pointers b */


/* localReadInitPointers */


/* prefetch: global -> local */

s_cmp_eq_u32 s[sgprLoopCounterL], 0                // at last iteration?
s_cbranch_scc1 ShadowInitStart_10                  // skip to ShadowInitStart iter b/c numIter==0


_buffer_load_b128 v[vgprG2LA+0:vgprG2LA+0+3], v[vgprGlobalReadOffsetA+0], s[sgprSrdA:sgprSrdA+3], 0, offen offset:0 // G -> Reg 0_0_0_0
_buffer_load_b128 v[vgprG2LA+4:vgprG2LA+4+3], v[vgprGlobalReadOffsetA+0], s[sgprSrdA:sgprSrdA+3], s[sgprScalarGlobalReadOffsetA+0], offen offset:0 // G -> Reg 0_0_1_0
_buffer_load_b128 v[vgprG2LA+8:vgprG2LA+8+3], v[vgprGlobalReadOffsetA+0], s[sgprSrdA:sgprSrdA+3], s[sgprScalarGlobalReadOffsetA+1], offen offset:0 // G -> Reg 0_0_2_0
_buffer_load_b128 v[vgprG2LA+12:vgprG2LA+12+3], v[vgprGlobalReadOffsetA+0], s[sgprSrdA:sgprSrdA+3], s[sgprScalarGlobalReadOffsetA+2], offen offset:0 // G -> Reg 0_0_3_0
_buffer_load_b128 v[vgprG2LA+16:vgprG2LA+16+3], v[vgprGlobalReadOffsetA+0], s[sgprSrdA:sgprSrdA+3], s[sgprScalarGlobalReadOffsetA+3], offen offset:0 // G -> Reg 0_0_4_0
_buffer_load_b128 v[vgprG2LA+20:vgprG2LA+20+3], v[vgprGlobalReadOffsetA+0], s[sgprSrdA:sgprSrdA+3], s[sgprScalarGlobalReadOffsetA+4], offen offset:0 // G -> Reg 0_0_5_0
_buffer_load_b128 v[vgprG2LA+24:vgprG2LA+24+3], v[vgprGlobalReadOffsetA+0], s[sgprSrdA:sgprSrdA+3], s[sgprScalarGlobalReadOffsetA+5], offen offset:0 // G -> Reg 0_0_6_0
_buffer_load_b128 v[vgprG2LA+28:vgprG2LA+28+3], v[vgprGlobalReadOffsetA+0], s[sgprSrdA:sgprSrdA+3], s[sgprScalarGlobalReadOffsetA+6], offen offset:0 // G -> Reg 0_0_7_0


_buffer_load_b128 v[vgprG2LB+0:vgprG2LB+0+3], v[vgprGlobalReadOffsetB+0], s[sgprSrdB:sgprSrdB+3], 0, offen offset:0 // G -> Reg 0_0_0_0
_buffer_load_b128 v[vgprG2LB+4:vgprG2LB+4+3], v[vgprGlobalReadOffsetB+0], s[sgprSrdB:sgprSrdB+3], s[sgprScalarGlobalReadOffsetB+0], offen offset:0 // G -> Reg 0_0_1_0
_buffer_load_b128 v[vgprG2LB+8:vgprG2LB+8+3], v[vgprGlobalReadOffsetB+0], s[sgprSrdB:sgprSrdB+3], s[sgprScalarGlobalReadOffsetB+1], offen offset:0 // G -> Reg 0_0_2_0
_buffer_load_b128 v[vgprG2LB+12:vgprG2LB+12+3], v[vgprGlobalReadOffsetB+0], s[sgprSrdB:sgprSrdB+3], s[sgprScalarGlobalReadOffsetB+2], offen offset:0 // G -> Reg 0_0_3_0
_buffer_load_b128 v[vgprG2LB+16:vgprG2LB+16+3], v[vgprGlobalReadOffsetB+0], s[sgprSrdB:sgprSrdB+3], s[sgprScalarGlobalReadOffsetB+3], offen offset:0 // G -> Reg 0_0_4_0
_buffer_load_b128 v[vgprG2LB+20:vgprG2LB+20+3], v[vgprGlobalReadOffsetB+0], s[sgprSrdB:sgprSrdB+3], s[sgprScalarGlobalReadOffsetB+4], offen offset:0 // G -> Reg 0_0_5_0


/* global read inc A loopL */
s_add_u32 s[sgprSrdA+0], s[sgprSrdA+0], s[sgprGlobalReadIncsA+0] // gra SRD += inc(lower)
s_addc_u32  s[sgprSrdA+1], s[sgprSrdA+1], 0        // gra SRD += inc(upper)
s_sub_u32 s[sgprShadowLimitA+0], s[sgprShadowLimitA+0], s[sgprGlobalReadIncsA+0] // limit -= inc)
s_subb_u32 s[sgprShadowLimitA+1], s[sgprShadowLimitA+1], 0 // limit -= inc)
s_cmp_eq_u32 s[sgprShadowLimitA+1], 0              // are we within 2^32?
s_cmov_b32 s[sgprSrdA+2], s[sgprShadowLimitA+0]    // Move shadow to real if we are within 2^32

/* global read inc B loopL */
s_add_u32 s[sgprSrdB+0], s[sgprSrdB+0], s[sgprGlobalReadIncsB+0] // gra SRD += inc(lower)
s_addc_u32  s[sgprSrdB+1], s[sgprSrdB+1], 0        // gra SRD += inc(upper)
s_sub_u32 s[sgprShadowLimitB+0], s[sgprShadowLimitB+0], s[sgprGlobalReadIncsB+0] // limit -= inc)
s_subb_u32 s[sgprShadowLimitB+1], s[sgprShadowLimitB+1], 0 // limit -= inc)
s_cmp_eq_u32 s[sgprShadowLimitB+1], 0              // are we within 2^32?
s_cmov_b32 s[sgprSrdB+2], s[sgprShadowLimitB+0]    // Move shadow to real if we are within 2^32


/******************************************/
/* End setupNewTile, isPap=False             */
/******************************************/

ShadowInitStart_10: // 

s_mov_b32 s[sgprSrdD+2], BufferOOB                 // 
s_mov_b32 s[sgprSrdD+3], Srd127_96                 // Set bits 127_96 in post-loop SRD

s_mov_b32 s[sgprSrdC+2], BufferOOB                 // 
s_mov_b32 s[sgprSrdC+3], Srd127_96                 // Set bits 127_96 in post-loop SRD


s_mul_i32 s68, MT1, s[sgprWorkGroup1]              // <- wg1*MT1
s_mul_hi_u32 s67, s68, s[sgprStrideC1J]            // CScale s68 by Stride
s_mul_i32 s66, s68, s[sgprStrideC1J]               // CScale s68 by Stride
s_lshl_b64 s[66:67], s[66:67], 1                   // scale by bpe
s_add_u32 s[sgprSrdC+0], s[sgprSrdC+0], s66        // add lo to SRD
s_addc_u32 s[sgprSrdC+1], s[sgprSrdC+1], s67       // add hi to SRD
s_mul_hi_u32 s67, s68, s[sgprStrideD1J]            // Scale s68 by Stride
s_mul_i32 s66, s68, s[sgprStrideD1J]               // Scale s68 by Stride
s_lshl_b64 s[66:67], s[66:67], 1                   // scale by bpe
s_add_u32 s[sgprSrdD+0], s[sgprSrdD+0], s66        // add lo to SRD
s_addc_u32 s[sgprSrdD+1], s[sgprSrdD+1], s67       // add hi to SRD

s_mul_hi_u32 s67, s[sgprWorkGroup2], s[sgprStrideCK] // CScale s[sgprWorkGroup2] by Stride
s_mul_i32 s66, s[sgprWorkGroup2], s[sgprStrideCK]  // CScale s[sgprWorkGroup2] by Stride
s_lshl_b64 s[66:67], s[66:67], 1                   // scale by bpe
s_add_u32 s[sgprSrdC+0], s[sgprSrdC+0], s66        // add lo to SRD
s_addc_u32 s[sgprSrdC+1], s[sgprSrdC+1], s67       // add hi to SRD
s_mul_hi_u32 s67, s[sgprWorkGroup2], s[sgprStrideDK] // Scale s[sgprWorkGroup2] by Stride
s_mul_i32 s66, s[sgprWorkGroup2], s[sgprStrideDK]  // Scale s[sgprWorkGroup2] by Stride
s_lshl_b64 s[66:67], s[66:67], 1                   // scale by bpe
s_add_u32 s[sgprSrdD+0], s[sgprSrdD+0], s66        // add lo to SRD
s_addc_u32 s[sgprSrdD+1], s[sgprSrdD+1], s67       // add hi to SRD



/* initC: remove C-tile 0-0 from pool */

/* initC: remove AB-tile 0-112 from pool */
v_accvgpr_write acc0, 0x0                          // initC
v_accvgpr_write acc1, 0x0                          // initC
v_accvgpr_write acc2, 0x0                          // initC
v_accvgpr_write acc3, 0x0                          // initC
v_accvgpr_write acc4, 0x0                          // initC
v_accvgpr_write acc5, 0x0                          // initC
v_accvgpr_write acc6, 0x0                          // initC
v_accvgpr_write acc7, 0x0                          // initC
v_accvgpr_write acc8, 0x0                          // initC
v_accvgpr_write acc9, 0x0                          // initC
v_accvgpr_write acc10, 0x0                         // initC
v_accvgpr_write acc11, 0x0                         // initC
v_accvgpr_write acc12, 0x0                         // initC
v_accvgpr_write acc13, 0x0                         // initC
v_accvgpr_write acc14, 0x0                         // initC
v_accvgpr_write acc15, 0x0                         // initC
v_accvgpr_write acc16, 0x0                         // initC
v_accvgpr_write acc17, 0x0                         // initC
v_accvgpr_write acc18, 0x0                         // initC
v_accvgpr_write acc19, 0x0                         // initC
v_accvgpr_write acc20, 0x0                         // initC
v_accvgpr_write acc21, 0x0                         // initC
v_accvgpr_write acc22, 0x0                         // initC
v_accvgpr_write acc23, 0x0                         // initC
v_accvgpr_write acc24, 0x0                         // initC
v_accvgpr_write acc25, 0x0                         // initC
v_accvgpr_write acc26, 0x0                         // initC
v_accvgpr_write acc27, 0x0                         // initC
v_accvgpr_write acc28, 0x0                         // initC
v_accvgpr_write acc29, 0x0                         // initC
v_accvgpr_write acc30, 0x0                         // initC
v_accvgpr_write acc31, 0x0                         // initC
v_accvgpr_write acc32, 0x0                         // initC
v_accvgpr_write acc33, 0x0                         // initC
v_accvgpr_write acc34, 0x0                         // initC
v_accvgpr_write acc35, 0x0                         // initC
v_accvgpr_write acc36, 0x0                         // initC
v_accvgpr_write acc37, 0x0                         // initC
v_accvgpr_write acc38, 0x0                         // initC
v_accvgpr_write acc39, 0x0                         // initC
v_accvgpr_write acc40, 0x0                         // initC
v_accvgpr_write acc41, 0x0                         // initC
v_accvgpr_write acc42, 0x0                         // initC
v_accvgpr_write acc43, 0x0                         // initC
v_accvgpr_write acc44, 0x0                         // initC
v_accvgpr_write acc45, 0x0                         // initC
v_accvgpr_write acc46, 0x0                         // initC
v_accvgpr_write acc47, 0x0                         // initC
v_accvgpr_write acc48, 0x0                         // initC
v_accvgpr_write acc49, 0x0                         // initC
v_accvgpr_write acc50, 0x0                         // initC
v_accvgpr_write acc51, 0x0                         // initC
v_accvgpr_write acc52, 0x0                         // initC
v_accvgpr_write acc53, 0x0                         // initC
v_accvgpr_write acc54, 0x0                         // initC
v_accvgpr_write acc55, 0x0                         // initC
v_accvgpr_write acc56, 0x0                         // initC
v_accvgpr_write acc57, 0x0                         // initC
v_accvgpr_write acc58, 0x0                         // initC
v_accvgpr_write acc59, 0x0                         // initC
v_accvgpr_write acc60, 0x0                         // initC
v_accvgpr_write acc61, 0x0                         // initC
v_accvgpr_write acc62, 0x0                         // initC
v_accvgpr_write acc63, 0x0                         // initC
v_accvgpr_write acc64, 0x0                         // initC
v_accvgpr_write acc65, 0x0                         // initC
v_accvgpr_write acc66, 0x0                         // initC
v_accvgpr_write acc67, 0x0                         // initC
v_accvgpr_write acc68, 0x0                         // initC
v_accvgpr_write acc69, 0x0                         // initC
v_accvgpr_write acc70, 0x0                         // initC
v_accvgpr_write acc71, 0x0                         // initC
v_accvgpr_write acc72, 0x0                         // initC
v_accvgpr_write acc73, 0x0                         // initC
v_accvgpr_write acc74, 0x0                         // initC
v_accvgpr_write acc75, 0x0                         // initC
v_accvgpr_write acc76, 0x0                         // initC
v_accvgpr_write acc77, 0x0                         // initC
v_accvgpr_write acc78, 0x0                         // initC
v_accvgpr_write acc79, 0x0                         // initC
v_accvgpr_write acc80, 0x0                         // initC
v_accvgpr_write acc81, 0x0                         // initC
v_accvgpr_write acc82, 0x0                         // initC
v_accvgpr_write acc83, 0x0                         // initC
v_accvgpr_write acc84, 0x0                         // initC
v_accvgpr_write acc85, 0x0                         // initC
v_accvgpr_write acc86, 0x0                         // initC
v_accvgpr_write acc87, 0x0                         // initC
v_accvgpr_write acc88, 0x0                         // initC
v_accvgpr_write acc89, 0x0                         // initC
v_accvgpr_write acc90, 0x0                         // initC
v_accvgpr_write acc91, 0x0                         // initC
v_accvgpr_write acc92, 0x0                         // initC
v_accvgpr_write acc93, 0x0                         // initC
v_accvgpr_write acc94, 0x0                         // initC
v_accvgpr_write acc95, 0x0                         // initC
v_accvgpr_write acc96, 0x0                         // initC
v_accvgpr_write acc97, 0x0                         // initC
v_accvgpr_write acc98, 0x0                         // initC
v_accvgpr_write acc99, 0x0                         // initC
v_accvgpr_write acc100, 0x0                        // initC
v_accvgpr_write acc101, 0x0                        // initC
v_accvgpr_write acc102, 0x0                        // initC
v_accvgpr_write acc103, 0x0                        // initC
v_accvgpr_write acc104, 0x0                        // initC
v_accvgpr_write acc105, 0x0                        // initC
v_accvgpr_write acc106, 0x0                        // initC
v_accvgpr_write acc107, 0x0                        // initC
v_accvgpr_write acc108, 0x0                        // initC
v_accvgpr_write acc109, 0x0                        // initC
v_accvgpr_write acc110, 0x0                        // initC
v_accvgpr_write acc111, 0x0                        // initC
v_accvgpr_write acc112, 0x0                        // initC
v_accvgpr_write acc113, 0x0                        // initC
v_accvgpr_write acc114, 0x0                        // initC
v_accvgpr_write acc115, 0x0                        // initC
v_accvgpr_write acc116, 0x0                        // initC
v_accvgpr_write acc117, 0x0                        // initC
v_accvgpr_write acc118, 0x0                        // initC
v_accvgpr_write acc119, 0x0                        // initC
v_accvgpr_write acc120, 0x0                        // initC
v_accvgpr_write acc121, 0x0                        // initC
v_accvgpr_write acc122, 0x0                        // initC
v_accvgpr_write acc123, 0x0                        // initC
v_accvgpr_write acc124, 0x0                        // initC
v_accvgpr_write acc125, 0x0                        // initC
v_accvgpr_write acc126, 0x0                        // initC
v_accvgpr_write acc127, 0x0                        // initC
v_accvgpr_write acc128, 0x0                        // initC
v_accvgpr_write acc129, 0x0                        // initC
v_accvgpr_write acc130, 0x0                        // initC
v_accvgpr_write acc131, 0x0                        // initC
v_accvgpr_write acc132, 0x0                        // initC
v_accvgpr_write acc133, 0x0                        // initC
v_accvgpr_write acc134, 0x0                        // initC
v_accvgpr_write acc135, 0x0                        // initC
v_accvgpr_write acc136, 0x0                        // initC
v_accvgpr_write acc137, 0x0                        // initC
v_accvgpr_write acc138, 0x0                        // initC
v_accvgpr_write acc139, 0x0                        // initC
v_accvgpr_write acc140, 0x0                        // initC
v_accvgpr_write acc141, 0x0                        // initC
v_accvgpr_write acc142, 0x0                        // initC
v_accvgpr_write acc143, 0x0                        // initC
v_accvgpr_write acc144, 0x0                        // initC
v_accvgpr_write acc145, 0x0                        // initC
v_accvgpr_write acc146, 0x0                        // initC
v_accvgpr_write acc147, 0x0                        // initC
v_accvgpr_write acc148, 0x0                        // initC
v_accvgpr_write acc149, 0x0                        // initC
v_accvgpr_write acc150, 0x0                        // initC
v_accvgpr_write acc151, 0x0                        // initC
v_accvgpr_write acc152, 0x0                        // initC
v_accvgpr_write acc153, 0x0                        // initC
v_accvgpr_write acc154, 0x0                        // initC
v_accvgpr_write acc155, 0x0                        // initC
v_accvgpr_write acc156, 0x0                        // initC
v_accvgpr_write acc157, 0x0                        // initC
v_accvgpr_write acc158, 0x0                        // initC
v_accvgpr_write acc159, 0x0                        // initC
v_accvgpr_write acc160, 0x0                        // initC
v_accvgpr_write acc161, 0x0                        // initC
v_accvgpr_write acc162, 0x0                        // initC
v_accvgpr_write acc163, 0x0                        // initC
v_accvgpr_write acc164, 0x0                        // initC
v_accvgpr_write acc165, 0x0                        // initC
v_accvgpr_write acc166, 0x0                        // initC
v_accvgpr_write acc167, 0x0                        // initC
v_accvgpr_write acc168, 0x0                        // initC
v_accvgpr_write acc169, 0x0                        // initC
v_accvgpr_write acc170, 0x0                        // initC
v_accvgpr_write acc171, 0x0                        // initC
v_accvgpr_write acc172, 0x0                        // initC
v_accvgpr_write acc173, 0x0                        // initC
v_accvgpr_write acc174, 0x0                        // initC
v_accvgpr_write acc175, 0x0                        // initC
v_accvgpr_write acc176, 0x0                        // initC
v_accvgpr_write acc177, 0x0                        // initC
v_accvgpr_write acc178, 0x0                        // initC
v_accvgpr_write acc179, 0x0                        // initC
v_accvgpr_write acc180, 0x0                        // initC
v_accvgpr_write acc181, 0x0                        // initC
v_accvgpr_write acc182, 0x0                        // initC
v_accvgpr_write acc183, 0x0                        // initC
v_accvgpr_write acc184, 0x0                        // initC
v_accvgpr_write acc185, 0x0                        // initC
v_accvgpr_write acc186, 0x0                        // initC
v_accvgpr_write acc187, 0x0                        // initC
v_accvgpr_write acc188, 0x0                        // initC
v_accvgpr_write acc189, 0x0                        // initC
v_accvgpr_write acc190, 0x0                        // initC
v_accvgpr_write acc191, 0x0                        // initC

s_cmp_eq_u32 s[sgprLoopCounterL], 0                // at last iteration?

/* after InitC, skip to end of prefetch last iter if numIter==0 */
s_cbranch_scc0 label_NoBranch_11                   // Only branch on scc1
s_getpc_B64 s[66:67]                               // addr of next instr
s_add_i32 s68, PrefetchGlobalLastIterEnd_5, 0x4    // target branch offset
s_add_u32 s66, s66, s68                            // add target branch offset
s_addc_u32 s67, s67, 0                             // add high and carry
s_setpc_b64 s[66:67]                               // branch to PrefetchGlobalLastIterEnd_5
label_NoBranch_11:

s_waitcnt vmcnt(0)                                 // lgkmcnt=-1 vmcnt=0 8wait for global read


/* local write a */
_ds_store_b128 v[vgprLocalWriteAddrA], v[vgprG2LA+0:vgprG2LA+0+3] offset:0 // lwoA_0_0_0_0 = (0*LSCA)*(MT0I+PAD) + (0*LSPA) = 0
_ds_store_b128 v[vgprLocalWriteAddrA], v[vgprG2LA+4:vgprG2LA+4+3] offset:4608 // lwoA_0_0_1_0 = (0*LSCA)*(MT0I+PAD) + (1*LSPA) = 4608
_ds_store_b128 v[vgprLocalWriteAddrA], v[vgprG2LA+8:vgprG2LA+8+3] offset:9216 // lwoA_0_0_2_0 = (0*LSCA)*(MT0I+PAD) + (2*LSPA) = 9216
_ds_store_b128 v[vgprLocalWriteAddrA], v[vgprG2LA+12:vgprG2LA+12+3] offset:13824 // lwoA_0_0_3_0 = (0*LSCA)*(MT0I+PAD) + (3*LSPA) = 13824
_ds_store_b128 v[vgprLocalWriteAddrA], v[vgprG2LA+16:vgprG2LA+16+3] offset:18432 // lwoA_0_0_4_0 = (0*LSCA)*(MT0I+PAD) + (4*LSPA) = 18432
_ds_store_b128 v[vgprLocalWriteAddrA], v[vgprG2LA+20:vgprG2LA+20+3] offset:23040 // lwoA_0_0_5_0 = (0*LSCA)*(MT0I+PAD) + (5*LSPA) = 23040
_ds_store_b128 v[vgprLocalWriteAddrA], v[vgprG2LA+24:vgprG2LA+24+3] offset:27648 // lwoA_0_0_6_0 = (0*LSCA)*(MT0I+PAD) + (6*LSPA) = 27648
_ds_store_b128 v[vgprLocalWriteAddrA], v[vgprG2LA+28:vgprG2LA+28+3] offset:32256 // lwoA_0_0_7_0 = (0*LSCA)*(MT0I+PAD) + (7*LSPA) = 32256

/* local write b */
_ds_store_b128 v[vgprLocalWriteAddrB], v[vgprG2LB+0:vgprG2LB+0+3] offset:0 // lwoB_0_0_0_0 = (0*LSCB)*(MT1J+PAD) + (0*LSPB) = 0
_ds_store_b128 v[vgprLocalWriteAddrB], v[vgprG2LB+4:vgprG2LB+4+3] offset:4608 // lwoB_0_0_1_0 = (0*LSCB)*(MT1J+PAD) + (1*LSPB) = 4608
_ds_store_b128 v[vgprLocalWriteAddrB], v[vgprG2LB+8:vgprG2LB+8+3] offset:9216 // lwoB_0_0_2_0 = (0*LSCB)*(MT1J+PAD) + (2*LSPB) = 9216
_ds_store_b128 v[vgprLocalWriteAddrB], v[vgprG2LB+12:vgprG2LB+12+3] offset:13824 // lwoB_0_0_3_0 = (0*LSCB)*(MT1J+PAD) + (3*LSPB) = 13824
_ds_store_b128 v[vgprLocalWriteAddrB], v[vgprG2LB+16:vgprG2LB+16+3] offset:18432 // lwoB_0_0_4_0 = (0*LSCB)*(MT1J+PAD) + (4*LSPB) = 18432
_ds_store_b128 v[vgprLocalWriteAddrB], v[vgprG2LB+20:vgprG2LB+20+3] offset:23040 // lwoB_0_0_5_0 = (0*LSCB)*(MT1J+PAD) + (5*LSPB) = 23040


/* local write swap a */


	;; [unrolled: 1-line block ×3, first 2 shown]
/* local write swap b */


	;; [unrolled: 1-line block ×4, first 2 shown]
s_cmp_eq_u32 s[sgprLoopCounterL] 0x1               // PGR=2 but only 1 loop
s_cbranch_scc1 label_0012                          // PGR=2 but only 1 loop


_buffer_load_b128 v[vgprG2LA+0:vgprG2LA+0+3], v[vgprGlobalReadOffsetA+0], s[sgprSrdA:sgprSrdA+3], 0, offen offset:0 // G -> Reg 0_0_0_0
_buffer_load_b128 v[vgprG2LA+4:vgprG2LA+4+3], v[vgprGlobalReadOffsetA+0], s[sgprSrdA:sgprSrdA+3], s[sgprScalarGlobalReadOffsetA+0], offen offset:0 // G -> Reg 0_0_1_0
_buffer_load_b128 v[vgprG2LA+8:vgprG2LA+8+3], v[vgprGlobalReadOffsetA+0], s[sgprSrdA:sgprSrdA+3], s[sgprScalarGlobalReadOffsetA+1], offen offset:0 // G -> Reg 0_0_2_0
_buffer_load_b128 v[vgprG2LA+12:vgprG2LA+12+3], v[vgprGlobalReadOffsetA+0], s[sgprSrdA:sgprSrdA+3], s[sgprScalarGlobalReadOffsetA+2], offen offset:0 // G -> Reg 0_0_3_0
_buffer_load_b128 v[vgprG2LA+16:vgprG2LA+16+3], v[vgprGlobalReadOffsetA+0], s[sgprSrdA:sgprSrdA+3], s[sgprScalarGlobalReadOffsetA+3], offen offset:0 // G -> Reg 0_0_4_0
_buffer_load_b128 v[vgprG2LA+20:vgprG2LA+20+3], v[vgprGlobalReadOffsetA+0], s[sgprSrdA:sgprSrdA+3], s[sgprScalarGlobalReadOffsetA+4], offen offset:0 // G -> Reg 0_0_5_0
_buffer_load_b128 v[vgprG2LA+24:vgprG2LA+24+3], v[vgprGlobalReadOffsetA+0], s[sgprSrdA:sgprSrdA+3], s[sgprScalarGlobalReadOffsetA+5], offen offset:0 // G -> Reg 0_0_6_0
_buffer_load_b128 v[vgprG2LA+28:vgprG2LA+28+3], v[vgprGlobalReadOffsetA+0], s[sgprSrdA:sgprSrdA+3], s[sgprScalarGlobalReadOffsetA+6], offen offset:0 // G -> Reg 0_0_7_0


_buffer_load_b128 v[vgprG2LB+0:vgprG2LB+0+3], v[vgprGlobalReadOffsetB+0], s[sgprSrdB:sgprSrdB+3], 0, offen offset:0 // G -> Reg 0_0_0_0
_buffer_load_b128 v[vgprG2LB+4:vgprG2LB+4+3], v[vgprGlobalReadOffsetB+0], s[sgprSrdB:sgprSrdB+3], s[sgprScalarGlobalReadOffsetB+0], offen offset:0 // G -> Reg 0_0_1_0
_buffer_load_b128 v[vgprG2LB+8:vgprG2LB+8+3], v[vgprGlobalReadOffsetB+0], s[sgprSrdB:sgprSrdB+3], s[sgprScalarGlobalReadOffsetB+1], offen offset:0 // G -> Reg 0_0_2_0
_buffer_load_b128 v[vgprG2LB+12:vgprG2LB+12+3], v[vgprGlobalReadOffsetB+0], s[sgprSrdB:sgprSrdB+3], s[sgprScalarGlobalReadOffsetB+2], offen offset:0 // G -> Reg 0_0_3_0
_buffer_load_b128 v[vgprG2LB+16:vgprG2LB+16+3], v[vgprGlobalReadOffsetB+0], s[sgprSrdB:sgprSrdB+3], s[sgprScalarGlobalReadOffsetB+3], offen offset:0 // G -> Reg 0_0_4_0
_buffer_load_b128 v[vgprG2LB+20:vgprG2LB+20+3], v[vgprGlobalReadOffsetB+0], s[sgprSrdB:sgprSrdB+3], s[sgprScalarGlobalReadOffsetB+4], offen offset:0 // G -> Reg 0_0_5_0

label_0012:                                        // 

s_waitcnt lgkmcnt(0)                               // lgkmcnt=0 vmcnt=-10prefetch wait for local write

// Skip force waitcnt0
s_barrier //


/* local read prefetch a */

_ds_load_b128 v[vgprValuA_X0_I0+0:vgprValuA_X0_I0+0+3], v[vgprLocalReadAddrA] offset:0 // L -> Reg lro=0 swapByteOffset=0 ti=64 vIdx=0 rIdx=0 oIdx=0 buffer=0 iui=0
_ds_load_b128 v[vgprValuA_X0_I0+4:vgprValuA_X0_I0+4+3], v[vgprLocalReadAddrA] offset:9216 // L -> Reg lro=0 swapByteOffset=0 ti=64 vIdx=1 rIdx=0 oIdx=0 buffer=0 iui=0
_ds_load_b128 v[vgprValuA_X0_I0+8:vgprValuA_X0_I0+8+3], v[vgprLocalReadAddrA] offset:18432 // L -> Reg lro=0 swapByteOffset=0 ti=64 vIdx=2 rIdx=0 oIdx=0 buffer=0 iui=0
_ds_load_b128 v[vgprValuA_X0_I0+12:vgprValuA_X0_I0+12+3], v[vgprLocalReadAddrA] offset:27648 // L -> Reg lro=0 swapByteOffset=0 ti=64 vIdx=3 rIdx=0 oIdx=0 buffer=0 iui=0


/* local read prefetch b */

_ds_load_b128 v[vgprValuB_X0_I0+0:vgprValuB_X0_I0+0+3], v[vgprLocalReadAddrB] offset:0 // L -> Reg lro=0 swapByteOffset=0 ti=64 vIdx=0 rIdx=0 oIdx=0 buffer=0 iui=0
_ds_load_b128 v[vgprValuB_X0_I0+4:vgprValuB_X0_I0+4+3], v[vgprLocalReadAddrB] offset:9216 // L -> Reg lro=0 swapByteOffset=0 ti=64 vIdx=1 rIdx=0 oIdx=0 buffer=0 iui=0
_ds_load_b128 v[vgprValuB_X0_I0+8:vgprValuB_X0_I0+8+3], v[vgprLocalReadAddrB] offset:18432 // L -> Reg lro=0 swapByteOffset=0 ti=64 vIdx=2 rIdx=0 oIdx=0 buffer=0 iui=0


/* local read inc a */

/* N/A, lro->16 */
/* self.localReadDoCntA 1 self.localReadDoCntB 1 */


/* local read inc b */

/* N/A, lro->16 */
/* self.localReadDoCntA 1 self.localReadDoCntB 1 */


	;; [unrolled: 1-line block ×3, first 2 shown]
/******************************************/
/* Unrolled Loop(s) - Begin               */
/******************************************/

openLoopL_13:
s_cmp_eq_u32 s[sgprLoopCounterL], 0x1              // LoopCounterL < EndCounter
s_cbranch_scc1 label_0014                          // PGR=2 but only 1 loop, toPGR1
s_cmp_le_u32 s[sgprLoopCounterL], 0x2              // LoopCounterL < EndCounter
s_cbranch_scc1 LoopEndL_evenexit_4                 // do not enter LoopL
LoopBeginL_1:


/******************************************/
/* Unrolled Loop 1/2 - Begin              */
/******************************************/

label_0015: // LoopCopy1 


/* Begin Each Unroll: Check VGPR.checkin for INT8 LW */


	;; [unrolled: 1-line block ×3, first 2 shown]
/* iter 0 */

/*  grEndMfmaIndex:4, lwStartMfmaIndex:28, lwEndMfmaIndex:83  */
/*  numMfmaForLR:11, barrierMfmaIndex:84, LocalWritePerMfma:0.240 */
/*  mfmaIndex:0  */
s_waitcnt lgkmcnt(0)                               // lgkmcnt=0 vmcnt=-1wait for prior local read local write old=0, new=0 newLW=0 newLR=0
v_mfma_f32_32x32x8_f16 a[0+0:15+0], v[vgprValuB_X0_I0+0+0+0:vgprValuB_X0_I0+0+0+0+1], v[vgprValuA_X0_I0+0+0+0:vgprValuA_X0_I0+0+0+0+1], a[0:15]
/*  mfmaIndex:1  */
_ds_load_b128 v[vgprValuA_X2_I0+0:vgprValuA_X2_I0+0+3], v[vgprLocalReadAddrA] offset:32 // L -> Reg lro=16 swapByteOffset=0 ti=64 vIdx=0 rIdx=0 oIdx=0 buffer=2 iui=0

/* global read inc A loopL */
s_add_u32 s[sgprSrdA+0], s[sgprSrdA+0], s[sgprGlobalReadIncsA+0] // gra SRD += inc(lower)
s_addc_u32  s[sgprSrdA+1], s[sgprSrdA+1], 0        // gra SRD += inc(upper)
s_sub_u32 s[sgprShadowLimitA+0], s[sgprShadowLimitA+0], s[sgprGlobalReadIncsA+0] // limit -= inc)
v_mfma_f32_32x32x8_f16 a[16+0:31+0], v[vgprValuB_X0_I0+0+0+0:vgprValuB_X0_I0+0+0+0+1], v[vgprValuA_X0_I0+4+0+0:vgprValuA_X0_I0+4+0+0+1], a[16:31]
/*  mfmaIndex:2  */
_ds_load_b128 v[vgprValuB_X2_I0+0:vgprValuB_X2_I0+0+3], v[vgprLocalReadAddrB] offset:32 // L -> Reg lro=16 swapByteOffset=0 ti=64 vIdx=0 rIdx=0 oIdx=0 buffer=2 iui=0
s_subb_u32 s[sgprShadowLimitA+1], s[sgprShadowLimitA+1], 0 // limit -= inc)
s_cmp_eq_u32 s[sgprShadowLimitA+1], 0              // are we within 2^32?
s_cmov_b32 s[sgprSrdA+2], s[sgprShadowLimitA+0]    // Move shadow to real if we are within 2^32
v_mfma_f32_32x32x8_f16 a[32+0:47+0], v[vgprValuB_X0_I0+0+0+0:vgprValuB_X0_I0+0+0+0+1], v[vgprValuA_X0_I0+8+0+0:vgprValuA_X0_I0+8+0+0+1], a[32:47]
/*  mfmaIndex:3  */
_ds_load_b128 v[vgprValuA_X2_I0+4:vgprValuA_X2_I0+4+3], v[vgprLocalReadAddrA] offset:9248 // L -> Reg lro=16 swapByteOffset=0 ti=64 vIdx=1 rIdx=0 oIdx=0 buffer=2 iui=0

/* global read inc B loopL */
s_add_u32 s[sgprSrdB+0], s[sgprSrdB+0], s[sgprGlobalReadIncsB+0] // gra SRD += inc(lower)
s_addc_u32  s[sgprSrdB+1], s[sgprSrdB+1], 0        // gra SRD += inc(upper)
s_sub_u32 s[sgprShadowLimitB+0], s[sgprShadowLimitB+0], s[sgprGlobalReadIncsB+0] // limit -= inc)
v_mfma_f32_32x32x8_f16 a[48+0:63+0], v[vgprValuB_X0_I0+0+0+0:vgprValuB_X0_I0+0+0+0+1], v[vgprValuA_X0_I0+12+0+0:vgprValuA_X0_I0+12+0+0+1], a[48:63]
/*  mfmaIndex:4  */
_ds_load_b128 v[vgprValuA_X2_I0+8:vgprValuA_X2_I0+8+3], v[vgprLocalReadAddrA] offset:18464 // L -> Reg lro=16 swapByteOffset=0 ti=64 vIdx=2 rIdx=0 oIdx=0 buffer=2 iui=0
s_subb_u32 s[sgprShadowLimitB+1], s[sgprShadowLimitB+1], 0 // limit -= inc)
s_cmp_eq_u32 s[sgprShadowLimitB+1], 0              // are we within 2^32?
s_cmov_b32 s[sgprSrdB+2], s[sgprShadowLimitB+0]    // Move shadow to real if we are within 2^32
v_mfma_f32_32x32x8_f16 a[112+0:127+0], v[vgprValuB_X0_I0+4+0+0:vgprValuB_X0_I0+4+0+0+1], v[vgprValuA_X0_I0+12+0+0:vgprValuA_X0_I0+12+0+0+1], a[112:127]
/*  mfmaIndex:5  */
_ds_load_b128 v[vgprValuA_X2_I0+12:vgprValuA_X2_I0+12+3], v[vgprLocalReadAddrA] offset:27680 // L -> Reg lro=16 swapByteOffset=0 ti=64 vIdx=3 rIdx=0 oIdx=0 buffer=2 iui=0
v_mfma_f32_32x32x8_f16 a[96+0:111+0], v[vgprValuB_X0_I0+4+0+0:vgprValuB_X0_I0+4+0+0+1], v[vgprValuA_X0_I0+8+0+0:vgprValuA_X0_I0+8+0+0+1], a[96:111]
/*  mfmaIndex:6  */
_ds_load_b128 v[vgprValuB_X2_I0+4:vgprValuB_X2_I0+4+3], v[vgprLocalReadAddrB] offset:9248 // L -> Reg lro=16 swapByteOffset=0 ti=64 vIdx=1 rIdx=0 oIdx=0 buffer=2 iui=0
v_mfma_f32_32x32x8_f16 a[80+0:95+0], v[vgprValuB_X0_I0+4+0+0:vgprValuB_X0_I0+4+0+0+1], v[vgprValuA_X0_I0+4+0+0:vgprValuA_X0_I0+4+0+0+1], a[80:95]
/*  mfmaIndex:7  */
_ds_load_b128 v[vgprValuB_X2_I0+8:vgprValuB_X2_I0+8+3], v[vgprLocalReadAddrB] offset:18464 // L -> Reg lro=16 swapByteOffset=0 ti=64 vIdx=2 rIdx=0 oIdx=0 buffer=2 iui=0
/* localReadsVacancy: latencyLeft 2 */
v_mfma_f32_32x32x8_f16 a[64+0:79+0], v[vgprValuB_X0_I0+4+0+0:vgprValuB_X0_I0+4+0+0+1], v[vgprValuA_X0_I0+0+0+0:vgprValuA_X0_I0+0+0+0+1], a[64:79]
/*  mfmaIndex:8  */
/* localReadsVacancy: latencyLeft 6 */
_ds_load_b128 v[vgprValuA_X4_I0+0:vgprValuA_X4_I0+0+3], v[vgprLocalReadAddrA] offset:64 // L -> Reg lro=32 swapByteOffset=0 ti=64 vIdx=0 rIdx=0 oIdx=0 buffer=4 iui=0
v_mfma_f32_32x32x8_f16 a[128+0:143+0], v[vgprValuB_X0_I0+8+0+0:vgprValuB_X0_I0+8+0+0+1], v[vgprValuA_X0_I0+0+0+0:vgprValuA_X0_I0+0+0+0+1], a[128:143]
/*  mfmaIndex:9  */
/* localReadsVacancy: latencyLeft 6 */
_ds_load_b128 v[vgprValuB_X4_I0+0:vgprValuB_X4_I0+0+3], v[vgprLocalReadAddrB] offset:64 // L -> Reg lro=32 swapByteOffset=0 ti=64 vIdx=0 rIdx=0 oIdx=0 buffer=4 iui=0
v_mfma_f32_32x32x8_f16 a[144+0:159+0], v[vgprValuB_X0_I0+8+0+0:vgprValuB_X0_I0+8+0+0+1], v[vgprValuA_X0_I0+4+0+0:vgprValuA_X0_I0+4+0+0+1], a[144:159]
/*  mfmaIndex:10  */
/* localReadsVacancy: latencyLeft 6 */
_ds_load_b128 v[vgprValuA_X4_I0+4:vgprValuA_X4_I0+4+3], v[vgprLocalReadAddrA] offset:9280 // L -> Reg lro=32 swapByteOffset=0 ti=64 vIdx=1 rIdx=0 oIdx=0 buffer=4 iui=0
v_mfma_f32_32x32x8_f16 a[160+0:175+0], v[vgprValuB_X0_I0+8+0+0:vgprValuB_X0_I0+8+0+0+1], v[vgprValuA_X0_I0+8+0+0:vgprValuA_X0_I0+8+0+0+1], a[160:175]
/*  mfmaIndex:11  */
/* localReadsVacancy: latencyLeft 6 */
_ds_load_b128 v[vgprValuA_X4_I0+8:vgprValuA_X4_I0+8+3], v[vgprLocalReadAddrA] offset:18496 // L -> Reg lro=32 swapByteOffset=0 ti=64 vIdx=2 rIdx=0 oIdx=0 buffer=4 iui=0
v_mfma_f32_32x32x8_f16 a[176+0:191+0], v[vgprValuB_X0_I0+8+0+0:vgprValuB_X0_I0+8+0+0+1], v[vgprValuA_X0_I0+12+0+0:vgprValuA_X0_I0+12+0+0+1], a[176:191]
/* numPrefetchIter=0 */
/* dataAtIterA=-1 numReadsIterA=1 skipReadsIterA=1 readsPerIterA=4 */
/* dataAtIterB=-1 numReadsIterB=1 skipReadsIterB=1 readsPerIterB=3 */


/* iter 1 */

/*  grEndMfmaIndex:4, lwStartMfmaIndex:28, lwEndMfmaIndex:83  */
/*  numMfmaForLR:11, barrierMfmaIndex:84, LocalWritePerMfma:0.240 */
/*  mfmaIndex:12  */
_ds_load_b128 v[vgprValuA_X4_I0+12:vgprValuA_X4_I0+12+3], v[vgprLocalReadAddrA] offset:27712 // L -> Reg lro=32 swapByteOffset=0 ti=64 vIdx=3 rIdx=0 oIdx=0 buffer=4 iui=0
s_waitcnt lgkmcnt(12)                              // lgkmcnt=0 vmcnt=-1wait for prior local read local write old=4, new=12 newLW=0 newLR=8
v_mfma_f32_32x32x8_f16 a[0+0:15+0], v[vgprValuB_X0_I0+0+2+0:vgprValuB_X0_I0+0+2+0+1], v[vgprValuA_X0_I0+0+2+0:vgprValuA_X0_I0+0+2+0+1], a[0:15]
/*  mfmaIndex:13  */
_ds_load_b128 v[vgprValuB_X4_I0+4:vgprValuB_X4_I0+4+3], v[vgprLocalReadAddrB] offset:9280 // L -> Reg lro=32 swapByteOffset=0 ti=64 vIdx=1 rIdx=0 oIdx=0 buffer=4 iui=0
v_mfma_f32_32x32x8_f16 a[16+0:31+0], v[vgprValuB_X0_I0+0+2+0:vgprValuB_X0_I0+0+2+0+1], v[vgprValuA_X0_I0+4+2+0:vgprValuA_X0_I0+4+2+0+1], a[16:31]
/*  mfmaIndex:14  */
_ds_load_b128 v[vgprValuB_X4_I0+8:vgprValuB_X4_I0+8+3], v[vgprLocalReadAddrB] offset:18496 // L -> Reg lro=32 swapByteOffset=0 ti=64 vIdx=2 rIdx=0 oIdx=0 buffer=4 iui=0
/* localReadsVacancy: latencyLeft 2 */
v_mfma_f32_32x32x8_f16 a[32+0:47+0], v[vgprValuB_X0_I0+0+2+0:vgprValuB_X0_I0+0+2+0+1], v[vgprValuA_X0_I0+8+2+0:vgprValuA_X0_I0+8+2+0+1], a[32:47]
/*  mfmaIndex:15  */
/* localReadsVacancy: latencyLeft 6 */
_ds_load_b128 v[vgprValuA_X6_I0+0:vgprValuA_X6_I0+0+3], v[vgprLocalReadAddrA] offset:96 // L -> Reg lro=48 swapByteOffset=0 ti=64 vIdx=0 rIdx=0 oIdx=0 buffer=6 iui=0
v_mfma_f32_32x32x8_f16 a[48+0:63+0], v[vgprValuB_X0_I0+0+2+0:vgprValuB_X0_I0+0+2+0+1], v[vgprValuA_X0_I0+12+2+0:vgprValuA_X0_I0+12+2+0+1], a[48:63]
/*  mfmaIndex:16  */
/* localReadsVacancy: latencyLeft 6 */
_ds_load_b128 v[vgprValuB_X6_I0+0:vgprValuB_X6_I0+0+3], v[vgprLocalReadAddrB] offset:96 // L -> Reg lro=48 swapByteOffset=0 ti=64 vIdx=0 rIdx=0 oIdx=0 buffer=6 iui=0
v_mfma_f32_32x32x8_f16 a[112+0:127+0], v[vgprValuB_X0_I0+4+2+0:vgprValuB_X0_I0+4+2+0+1], v[vgprValuA_X0_I0+12+2+0:vgprValuA_X0_I0+12+2+0+1], a[112:127]
/*  mfmaIndex:17  */
/* localReadsVacancy: latencyLeft 6 */
_ds_load_b128 v[vgprValuA_X6_I0+4:vgprValuA_X6_I0+4+3], v[vgprLocalReadAddrA] offset:9312 // L -> Reg lro=48 swapByteOffset=0 ti=64 vIdx=1 rIdx=0 oIdx=0 buffer=6 iui=0
v_mfma_f32_32x32x8_f16 a[96+0:111+0], v[vgprValuB_X0_I0+4+2+0:vgprValuB_X0_I0+4+2+0+1], v[vgprValuA_X0_I0+8+2+0:vgprValuA_X0_I0+8+2+0+1], a[96:111]
/*  mfmaIndex:18  */
/* localReadsVacancy: latencyLeft 6 */
_ds_load_b128 v[vgprValuA_X6_I0+8:vgprValuA_X6_I0+8+3], v[vgprLocalReadAddrA] offset:18528 // L -> Reg lro=48 swapByteOffset=0 ti=64 vIdx=2 rIdx=0 oIdx=0 buffer=6 iui=0
	;; [unrolled: 4-line block ×3, first 2 shown]
v_mfma_f32_32x32x8_f16 a[64+0:79+0], v[vgprValuB_X0_I0+4+2+0:vgprValuB_X0_I0+4+2+0+1], v[vgprValuA_X0_I0+0+2+0:vgprValuA_X0_I0+0+2+0+1], a[64:79]
/*  mfmaIndex:20  */
/* localReadsVacancy: latencyLeft 6 */
_ds_load_b128 v[vgprValuB_X6_I0+4:vgprValuB_X6_I0+4+3], v[vgprLocalReadAddrB] offset:9312 // L -> Reg lro=48 swapByteOffset=0 ti=64 vIdx=1 rIdx=0 oIdx=0 buffer=6 iui=0
v_mfma_f32_32x32x8_f16 a[128+0:143+0], v[vgprValuB_X0_I0+8+2+0:vgprValuB_X0_I0+8+2+0+1], v[vgprValuA_X0_I0+0+2+0:vgprValuA_X0_I0+0+2+0+1], a[128:143]
/*  mfmaIndex:21  */
/* localReadsVacancy: latencyLeft 6 */
_ds_load_b128 v[vgprValuB_X6_I0+8:vgprValuB_X6_I0+8+3], v[vgprLocalReadAddrB] offset:18528 // L -> Reg lro=48 swapByteOffset=0 ti=64 vIdx=2 rIdx=0 oIdx=0 buffer=6 iui=0
v_mfma_f32_32x32x8_f16 a[144+0:159+0], v[vgprValuB_X0_I0+8+2+0:vgprValuB_X0_I0+8+2+0+1], v[vgprValuA_X0_I0+4+2+0:vgprValuA_X0_I0+4+2+0+1], a[144:159]
/*  mfmaIndex:22  */
/* localReadsVacancy: latencyLeft 6 */
v_mfma_f32_32x32x8_f16 a[160+0:175+0], v[vgprValuB_X0_I0+8+2+0:vgprValuB_X0_I0+8+2+0+1], v[vgprValuA_X0_I0+8+2+0:vgprValuA_X0_I0+8+2+0+1], a[160:175]
/*  mfmaIndex:23  */
/* localReadsVacancy: latencyLeft 6 */
v_mfma_f32_32x32x8_f16 a[176+0:191+0], v[vgprValuB_X0_I0+8+2+0:vgprValuB_X0_I0+8+2+0+1], v[vgprValuA_X0_I0+12+2+0:vgprValuA_X0_I0+12+2+0+1], a[176:191]
/* numPrefetchIter=0 */
/* dataAtIterA=-1 numReadsIterA=2 skipReadsIterA=2 readsPerIterA=4 */
/* dataAtIterB=-1 numReadsIterB=2 skipReadsIterB=2 readsPerIterB=3 */


/* iter 2 */

/*  grEndMfmaIndex:4, lwStartMfmaIndex:28, lwEndMfmaIndex:83  */
/*  numMfmaForLR:11, barrierMfmaIndex:84, LocalWritePerMfma:0.240 */
/*  mfmaIndex:24  */
/* localReadsVacancy: latencyLeft 6 */
s_waitcnt lgkmcnt(14)                              // lgkmcnt=0 vmcnt=-1wait for prior local read local write old=7, new=14 newLW=0 newLR=7
v_mfma_f32_32x32x8_f16 a[0+0:15+0], v[vgprValuB_X2_I0+0+0+0:vgprValuB_X2_I0+0+0+0+1], v[vgprValuA_X2_I0+0+0+0:vgprValuA_X2_I0+0+0+0+1], a[0:15]
/*  mfmaIndex:25  */
/* localReadsVacancy: latencyLeft 6 */
v_mfma_f32_32x32x8_f16 a[16+0:31+0], v[vgprValuB_X2_I0+0+0+0:vgprValuB_X2_I0+0+0+0+1], v[vgprValuA_X2_I0+4+0+0:vgprValuA_X2_I0+4+0+0+1], a[16:31]
/*  mfmaIndex:26  */
/* localReadsVacancy: latencyLeft 6 */
	;; [unrolled: 3-line block ×3, first 2 shown]
/* 1 LDS buffer: read-sync-write */
s_waitcnt lgkmcnt(0)                               // 
s_barrier                                          // 
v_mfma_f32_32x32x8_f16 a[48+0:63+0], v[vgprValuB_X2_I0+0+0+0:vgprValuB_X2_I0+0+0+0+1], v[vgprValuA_X2_I0+12+0+0:vgprValuA_X2_I0+12+0+0+1], a[48:63]
/*  mfmaIndex:28  */
/* sched write - iter 2 writesPerItem=1 */
s_waitcnt vmcnt(0)                                 // lgkmcnt=-1 vmcnt=0wait for global read before writing to local
_ds_store_b128 v[vgprLocalWriteAddrA], v[vgprG2LA+0:vgprG2LA+0+3] offset:0 // lwoA_0_0_0_0 = (0*LSCA)*(MT0I+PAD) + (0*LSPA) = 0
v_mfma_f32_32x32x8_f16 a[112+0:127+0], v[vgprValuB_X2_I0+4+0+0:vgprValuB_X2_I0+4+0+0+1], v[vgprValuA_X2_I0+12+0+0:vgprValuA_X2_I0+12+0+0+1], a[112:127]
/*  mfmaIndex:29  */
_buffer_load_b128 v[vgprG2LA+0:vgprG2LA+0+3], v[vgprGlobalReadOffsetA+0], s[sgprSrdA:sgprSrdA+3], 0, offen offset:0 // G -> Reg 0_0_0_0
v_mfma_f32_32x32x8_f16 a[96+0:111+0], v[vgprValuB_X2_I0+4+0+0:vgprValuB_X2_I0+4+0+0+1], v[vgprValuA_X2_I0+8+0+0:vgprValuA_X2_I0+8+0+0+1], a[96:111]
/*  mfmaIndex:30  */
v_mfma_f32_32x32x8_f16 a[80+0:95+0], v[vgprValuB_X2_I0+4+0+0:vgprValuB_X2_I0+4+0+0+1], v[vgprValuA_X2_I0+4+0+0:vgprValuA_X2_I0+4+0+0+1], a[80:95]
/*  mfmaIndex:31  */
	;; [unrolled: 2-line block ×3, first 2 shown]
/* sched write - iter 2 writesPerItem=1 */
s_waitcnt vmcnt(0)                                 // lgkmcnt=-1 vmcnt=0wait for global read before writing to local
_ds_store_b128 v[vgprLocalWriteAddrA], v[vgprG2LA+4:vgprG2LA+4+3] offset:4608 // lwoA_0_0_1_0 = (0*LSCA)*(MT0I+PAD) + (1*LSPA) = 4608
v_mfma_f32_32x32x8_f16 a[128+0:143+0], v[vgprValuB_X2_I0+8+0+0:vgprValuB_X2_I0+8+0+0+1], v[vgprValuA_X2_I0+0+0+0:vgprValuA_X2_I0+0+0+0+1], a[128:143]
/*  mfmaIndex:33  */
_buffer_load_b128 v[vgprG2LA+4:vgprG2LA+4+3], v[vgprGlobalReadOffsetA+0], s[sgprSrdA:sgprSrdA+3], s[sgprScalarGlobalReadOffsetA+0], offen offset:0 // G -> Reg 0_0_1_0
v_mfma_f32_32x32x8_f16 a[144+0:159+0], v[vgprValuB_X2_I0+8+0+0:vgprValuB_X2_I0+8+0+0+1], v[vgprValuA_X2_I0+4+0+0:vgprValuA_X2_I0+4+0+0+1], a[144:159]
/*  mfmaIndex:34  */
v_mfma_f32_32x32x8_f16 a[160+0:175+0], v[vgprValuB_X2_I0+8+0+0:vgprValuB_X2_I0+8+0+0+1], v[vgprValuA_X2_I0+8+0+0:vgprValuA_X2_I0+8+0+0+1], a[160:175]
/*  mfmaIndex:35  */
v_mfma_f32_32x32x8_f16 a[176+0:191+0], v[vgprValuB_X2_I0+8+0+0:vgprValuB_X2_I0+8+0+0+1], v[vgprValuA_X2_I0+12+0+0:vgprValuA_X2_I0+12+0+0+1], a[176:191]
/* numPrefetchIter=0 */
/* dataAtIterA=0 numReadsIterA=3 skipReadsIterA=2 readsPerIterA=4 */
/* dataAtIterB=0 numReadsIterB=3 skipReadsIterB=2 readsPerIterB=3 */


/* iter 3 */

/*  grEndMfmaIndex:4, lwStartMfmaIndex:28, lwEndMfmaIndex:83  */
/*  numMfmaForLR:11, barrierMfmaIndex:84, LocalWritePerMfma:0.240 */
/*  mfmaIndex:36  */
/* sched write - iter 3 writesPerItem=1 */
s_waitcnt vmcnt(0)                                 // lgkmcnt=-1 vmcnt=0wait for global read before writing to local
_ds_store_b128 v[vgprLocalWriteAddrA], v[vgprG2LA+8:vgprG2LA+8+3] offset:9216 // lwoA_0_0_2_0 = (0*LSCA)*(MT0I+PAD) + (2*LSPA) = 9216
v_mfma_f32_32x32x8_f16 a[0+0:15+0], v[vgprValuB_X2_I0+0+2+0:vgprValuB_X2_I0+0+2+0+1], v[vgprValuA_X2_I0+0+2+0:vgprValuA_X2_I0+0+2+0+1], a[0:15]
/*  mfmaIndex:37  */
_buffer_load_b128 v[vgprG2LA+8:vgprG2LA+8+3], v[vgprGlobalReadOffsetA+0], s[sgprSrdA:sgprSrdA+3], s[sgprScalarGlobalReadOffsetA+1], offen offset:0 // G -> Reg 0_0_2_0
v_mfma_f32_32x32x8_f16 a[16+0:31+0], v[vgprValuB_X2_I0+0+2+0:vgprValuB_X2_I0+0+2+0+1], v[vgprValuA_X2_I0+4+2+0:vgprValuA_X2_I0+4+2+0+1], a[16:31]
/*  mfmaIndex:38  */
v_mfma_f32_32x32x8_f16 a[32+0:47+0], v[vgprValuB_X2_I0+0+2+0:vgprValuB_X2_I0+0+2+0+1], v[vgprValuA_X2_I0+8+2+0:vgprValuA_X2_I0+8+2+0+1], a[32:47]
/*  mfmaIndex:39  */
	;; [unrolled: 2-line block ×3, first 2 shown]
/* sched write - iter 3 writesPerItem=1 */
s_waitcnt vmcnt(0)                                 // lgkmcnt=-1 vmcnt=0wait for global read before writing to local
_ds_store_b128 v[vgprLocalWriteAddrA], v[vgprG2LA+12:vgprG2LA+12+3] offset:13824 // lwoA_0_0_3_0 = (0*LSCA)*(MT0I+PAD) + (3*LSPA) = 13824
v_mfma_f32_32x32x8_f16 a[112+0:127+0], v[vgprValuB_X2_I0+4+2+0:vgprValuB_X2_I0+4+2+0+1], v[vgprValuA_X2_I0+12+2+0:vgprValuA_X2_I0+12+2+0+1], a[112:127]
/*  mfmaIndex:41  */
_buffer_load_b128 v[vgprG2LA+12:vgprG2LA+12+3], v[vgprGlobalReadOffsetA+0], s[sgprSrdA:sgprSrdA+3], s[sgprScalarGlobalReadOffsetA+2], offen offset:0 // G -> Reg 0_0_3_0
v_mfma_f32_32x32x8_f16 a[96+0:111+0], v[vgprValuB_X2_I0+4+2+0:vgprValuB_X2_I0+4+2+0+1], v[vgprValuA_X2_I0+8+2+0:vgprValuA_X2_I0+8+2+0+1], a[96:111]
/*  mfmaIndex:42  */
v_mfma_f32_32x32x8_f16 a[80+0:95+0], v[vgprValuB_X2_I0+4+2+0:vgprValuB_X2_I0+4+2+0+1], v[vgprValuA_X2_I0+4+2+0:vgprValuA_X2_I0+4+2+0+1], a[80:95]
/*  mfmaIndex:43  */
	;; [unrolled: 2-line block ×3, first 2 shown]
/* sched write - iter 3 writesPerItem=1 */
s_waitcnt vmcnt(0)                                 // lgkmcnt=-1 vmcnt=0wait for global read before writing to local
_ds_store_b128 v[vgprLocalWriteAddrA], v[vgprG2LA+16:vgprG2LA+16+3] offset:18432 // lwoA_0_0_4_0 = (0*LSCA)*(MT0I+PAD) + (4*LSPA) = 18432
v_mfma_f32_32x32x8_f16 a[128+0:143+0], v[vgprValuB_X2_I0+8+2+0:vgprValuB_X2_I0+8+2+0+1], v[vgprValuA_X2_I0+0+2+0:vgprValuA_X2_I0+0+2+0+1], a[128:143]
/*  mfmaIndex:45  */
_buffer_load_b128 v[vgprG2LA+16:vgprG2LA+16+3], v[vgprGlobalReadOffsetA+0], s[sgprSrdA:sgprSrdA+3], s[sgprScalarGlobalReadOffsetA+3], offen offset:0 // G -> Reg 0_0_4_0
v_mfma_f32_32x32x8_f16 a[144+0:159+0], v[vgprValuB_X2_I0+8+2+0:vgprValuB_X2_I0+8+2+0+1], v[vgprValuA_X2_I0+4+2+0:vgprValuA_X2_I0+4+2+0+1], a[144:159]
/*  mfmaIndex:46  */
v_mfma_f32_32x32x8_f16 a[160+0:175+0], v[vgprValuB_X2_I0+8+2+0:vgprValuB_X2_I0+8+2+0+1], v[vgprValuA_X2_I0+8+2+0:vgprValuA_X2_I0+8+2+0+1], a[160:175]
/*  mfmaIndex:47  */
v_mfma_f32_32x32x8_f16 a[176+0:191+0], v[vgprValuB_X2_I0+8+2+0:vgprValuB_X2_I0+8+2+0+1], v[vgprValuA_X2_I0+12+2+0:vgprValuA_X2_I0+12+2+0+1], a[176:191]


/* iter 4 */

/*  grEndMfmaIndex:4, lwStartMfmaIndex:28, lwEndMfmaIndex:83  */
/*  numMfmaForLR:11, barrierMfmaIndex:84, LocalWritePerMfma:0.240 */
/*  mfmaIndex:48  */
/* sched write - iter 4 writesPerItem=1 */
s_waitcnt vmcnt(0)                                 // lgkmcnt=-1 vmcnt=0wait for global read before writing to local
_ds_store_b128 v[vgprLocalWriteAddrA], v[vgprG2LA+20:vgprG2LA+20+3] offset:23040 // lwoA_0_0_5_0 = (0*LSCA)*(MT0I+PAD) + (5*LSPA) = 23040
v_mfma_f32_32x32x8_f16 a[0+0:15+0], v[vgprValuB_X4_I0+0+0+0:vgprValuB_X4_I0+0+0+0+1], v[vgprValuA_X4_I0+0+0+0:vgprValuA_X4_I0+0+0+0+1], a[0:15]
/*  mfmaIndex:49  */
_buffer_load_b128 v[vgprG2LA+20:vgprG2LA+20+3], v[vgprGlobalReadOffsetA+0], s[sgprSrdA:sgprSrdA+3], s[sgprScalarGlobalReadOffsetA+4], offen offset:0 // G -> Reg 0_0_5_0
v_mfma_f32_32x32x8_f16 a[16+0:31+0], v[vgprValuB_X4_I0+0+0+0:vgprValuB_X4_I0+0+0+0+1], v[vgprValuA_X4_I0+4+0+0:vgprValuA_X4_I0+4+0+0+1], a[16:31]
/*  mfmaIndex:50  */
v_mfma_f32_32x32x8_f16 a[32+0:47+0], v[vgprValuB_X4_I0+0+0+0:vgprValuB_X4_I0+0+0+0+1], v[vgprValuA_X4_I0+8+0+0:vgprValuA_X4_I0+8+0+0+1], a[32:47]
/*  mfmaIndex:51  */
	;; [unrolled: 2-line block ×4, first 2 shown]
/* sched write - iter 4 writesPerItem=1 */
s_waitcnt vmcnt(0)                                 // lgkmcnt=-1 vmcnt=0wait for global read before writing to local
_ds_store_b128 v[vgprLocalWriteAddrA], v[vgprG2LA+24:vgprG2LA+24+3] offset:27648 // lwoA_0_0_6_0 = (0*LSCA)*(MT0I+PAD) + (6*LSPA) = 27648
v_mfma_f32_32x32x8_f16 a[96+0:111+0], v[vgprValuB_X4_I0+4+0+0:vgprValuB_X4_I0+4+0+0+1], v[vgprValuA_X4_I0+8+0+0:vgprValuA_X4_I0+8+0+0+1], a[96:111]
/*  mfmaIndex:54  */
_buffer_load_b128 v[vgprG2LA+24:vgprG2LA+24+3], v[vgprGlobalReadOffsetA+0], s[sgprSrdA:sgprSrdA+3], s[sgprScalarGlobalReadOffsetA+5], offen offset:0 // G -> Reg 0_0_6_0
v_mfma_f32_32x32x8_f16 a[80+0:95+0], v[vgprValuB_X4_I0+4+0+0:vgprValuB_X4_I0+4+0+0+1], v[vgprValuA_X4_I0+4+0+0:vgprValuA_X4_I0+4+0+0+1], a[80:95]
/*  mfmaIndex:55  */
v_mfma_f32_32x32x8_f16 a[64+0:79+0], v[vgprValuB_X4_I0+4+0+0:vgprValuB_X4_I0+4+0+0+1], v[vgprValuA_X4_I0+0+0+0:vgprValuA_X4_I0+0+0+0+1], a[64:79]
/*  mfmaIndex:56  */
	;; [unrolled: 2-line block ×3, first 2 shown]
/* sched write - iter 4 writesPerItem=1 */
s_waitcnt vmcnt(0)                                 // lgkmcnt=-1 vmcnt=0wait for global read before writing to local
_ds_store_b128 v[vgprLocalWriteAddrA], v[vgprG2LA+28:vgprG2LA+28+3] offset:32256 // lwoA_0_0_7_0 = (0*LSCA)*(MT0I+PAD) + (7*LSPA) = 32256
v_mfma_f32_32x32x8_f16 a[144+0:159+0], v[vgprValuB_X4_I0+8+0+0:vgprValuB_X4_I0+8+0+0+1], v[vgprValuA_X4_I0+4+0+0:vgprValuA_X4_I0+4+0+0+1], a[144:159]
/*  mfmaIndex:58  */
_buffer_load_b128 v[vgprG2LA+28:vgprG2LA+28+3], v[vgprGlobalReadOffsetA+0], s[sgprSrdA:sgprSrdA+3], s[sgprScalarGlobalReadOffsetA+6], offen offset:0 // G -> Reg 0_0_7_0
v_mfma_f32_32x32x8_f16 a[160+0:175+0], v[vgprValuB_X4_I0+8+0+0:vgprValuB_X4_I0+8+0+0+1], v[vgprValuA_X4_I0+8+0+0:vgprValuA_X4_I0+8+0+0+1], a[160:175]
/*  mfmaIndex:59  */
v_mfma_f32_32x32x8_f16 a[176+0:191+0], v[vgprValuB_X4_I0+8+0+0:vgprValuB_X4_I0+8+0+0+1], v[vgprValuA_X4_I0+12+0+0:vgprValuA_X4_I0+12+0+0+1], a[176:191]


/* iter 5 */

/*  grEndMfmaIndex:4, lwStartMfmaIndex:28, lwEndMfmaIndex:83  */
/*  numMfmaForLR:11, barrierMfmaIndex:84, LocalWritePerMfma:0.240 */
/*  mfmaIndex:60  */
v_mfma_f32_32x32x8_f16 a[0+0:15+0], v[vgprValuB_X4_I0+0+2+0:vgprValuB_X4_I0+0+2+0+1], v[vgprValuA_X4_I0+0+2+0:vgprValuA_X4_I0+0+2+0+1], a[0:15]
/*  mfmaIndex:61  */
/* sched write - iter 5 writesPerItem=1 */
s_waitcnt vmcnt(0)                                 // lgkmcnt=-1 vmcnt=0wait for global read before writing to local
_ds_store_b128 v[vgprLocalWriteAddrB], v[vgprG2LB+0:vgprG2LB+0+3] offset:0 // lwoB_0_0_0_0 = (0*LSCB)*(MT1J+PAD) + (0*LSPB) = 0
v_mfma_f32_32x32x8_f16 a[16+0:31+0], v[vgprValuB_X4_I0+0+2+0:vgprValuB_X4_I0+0+2+0+1], v[vgprValuA_X4_I0+4+2+0:vgprValuA_X4_I0+4+2+0+1], a[16:31]
/*  mfmaIndex:62  */
_buffer_load_b128 v[vgprG2LB+0:vgprG2LB+0+3], v[vgprGlobalReadOffsetB+0], s[sgprSrdB:sgprSrdB+3], 0, offen offset:0 // G -> Reg 0_0_0_0
v_mfma_f32_32x32x8_f16 a[32+0:47+0], v[vgprValuB_X4_I0+0+2+0:vgprValuB_X4_I0+0+2+0+1], v[vgprValuA_X4_I0+8+2+0:vgprValuA_X4_I0+8+2+0+1], a[32:47]
/*  mfmaIndex:63  */
v_mfma_f32_32x32x8_f16 a[48+0:63+0], v[vgprValuB_X4_I0+0+2+0:vgprValuB_X4_I0+0+2+0+1], v[vgprValuA_X4_I0+12+2+0:vgprValuA_X4_I0+12+2+0+1], a[48:63]
/*  mfmaIndex:64  */
	;; [unrolled: 2-line block ×3, first 2 shown]
/* sched write - iter 5 writesPerItem=1 */
s_waitcnt vmcnt(0)                                 // lgkmcnt=-1 vmcnt=0wait for global read before writing to local
_ds_store_b128 v[vgprLocalWriteAddrB], v[vgprG2LB+4:vgprG2LB+4+3] offset:4608 // lwoB_0_0_1_0 = (0*LSCB)*(MT1J+PAD) + (1*LSPB) = 4608
v_mfma_f32_32x32x8_f16 a[96+0:111+0], v[vgprValuB_X4_I0+4+2+0:vgprValuB_X4_I0+4+2+0+1], v[vgprValuA_X4_I0+8+2+0:vgprValuA_X4_I0+8+2+0+1], a[96:111]
/*  mfmaIndex:66  */
_buffer_load_b128 v[vgprG2LB+4:vgprG2LB+4+3], v[vgprGlobalReadOffsetB+0], s[sgprSrdB:sgprSrdB+3], s[sgprScalarGlobalReadOffsetB+0], offen offset:0 // G -> Reg 0_0_1_0
v_mfma_f32_32x32x8_f16 a[80+0:95+0], v[vgprValuB_X4_I0+4+2+0:vgprValuB_X4_I0+4+2+0+1], v[vgprValuA_X4_I0+4+2+0:vgprValuA_X4_I0+4+2+0+1], a[80:95]
/*  mfmaIndex:67  */
v_mfma_f32_32x32x8_f16 a[64+0:79+0], v[vgprValuB_X4_I0+4+2+0:vgprValuB_X4_I0+4+2+0+1], v[vgprValuA_X4_I0+0+2+0:vgprValuA_X4_I0+0+2+0+1], a[64:79]
/*  mfmaIndex:68  */
	;; [unrolled: 2-line block ×3, first 2 shown]
/* sched write - iter 5 writesPerItem=1 */
s_waitcnt vmcnt(0)                                 // lgkmcnt=-1 vmcnt=0wait for global read before writing to local
_ds_store_b128 v[vgprLocalWriteAddrB], v[vgprG2LB+8:vgprG2LB+8+3] offset:9216 // lwoB_0_0_2_0 = (0*LSCB)*(MT1J+PAD) + (2*LSPB) = 9216
v_mfma_f32_32x32x8_f16 a[144+0:159+0], v[vgprValuB_X4_I0+8+2+0:vgprValuB_X4_I0+8+2+0+1], v[vgprValuA_X4_I0+4+2+0:vgprValuA_X4_I0+4+2+0+1], a[144:159]
/*  mfmaIndex:70  */
_buffer_load_b128 v[vgprG2LB+8:vgprG2LB+8+3], v[vgprGlobalReadOffsetB+0], s[sgprSrdB:sgprSrdB+3], s[sgprScalarGlobalReadOffsetB+1], offen offset:0 // G -> Reg 0_0_2_0
v_mfma_f32_32x32x8_f16 a[160+0:175+0], v[vgprValuB_X4_I0+8+2+0:vgprValuB_X4_I0+8+2+0+1], v[vgprValuA_X4_I0+8+2+0:vgprValuA_X4_I0+8+2+0+1], a[160:175]
/*  mfmaIndex:71  */
v_mfma_f32_32x32x8_f16 a[176+0:191+0], v[vgprValuB_X4_I0+8+2+0:vgprValuB_X4_I0+8+2+0+1], v[vgprValuA_X4_I0+12+2+0:vgprValuA_X4_I0+12+2+0+1], a[176:191]


/* iter 6 (reset local read pointers iteration)  (swap and reset local write pointers iteration)  (swap local read pointers iteration)  */

/*  grEndMfmaIndex:4, lwStartMfmaIndex:28, lwEndMfmaIndex:83  */
/*  numMfmaForLR:11, barrierMfmaIndex:84, LocalWritePerMfma:0.240 */
/*  mfmaIndex:72  */
v_mfma_f32_32x32x8_f16 a[0+0:15+0], v[vgprValuB_X6_I0+0+0+0:vgprValuB_X6_I0+0+0+0+1], v[vgprValuA_X6_I0+0+0+0:vgprValuA_X6_I0+0+0+0+1], a[0:15]
/*  mfmaIndex:73  */
/* sched write - iter 6 writesPerItem=1 */
s_waitcnt vmcnt(0)                                 // lgkmcnt=-1 vmcnt=0wait for global read before writing to local
_ds_store_b128 v[vgprLocalWriteAddrB], v[vgprG2LB+12:vgprG2LB+12+3] offset:13824 // lwoB_0_0_3_0 = (0*LSCB)*(MT1J+PAD) + (3*LSPB) = 13824
v_mfma_f32_32x32x8_f16 a[16+0:31+0], v[vgprValuB_X6_I0+0+0+0:vgprValuB_X6_I0+0+0+0+1], v[vgprValuA_X6_I0+4+0+0:vgprValuA_X6_I0+4+0+0+1], a[16:31]
/*  mfmaIndex:74  */
_buffer_load_b128 v[vgprG2LB+12:vgprG2LB+12+3], v[vgprGlobalReadOffsetB+0], s[sgprSrdB:sgprSrdB+3], s[sgprScalarGlobalReadOffsetB+2], offen offset:0 // G -> Reg 0_0_3_0
v_mfma_f32_32x32x8_f16 a[32+0:47+0], v[vgprValuB_X6_I0+0+0+0:vgprValuB_X6_I0+0+0+0+1], v[vgprValuA_X6_I0+8+0+0:vgprValuA_X6_I0+8+0+0+1], a[32:47]
/*  mfmaIndex:75  */
v_mfma_f32_32x32x8_f16 a[48+0:63+0], v[vgprValuB_X6_I0+0+0+0:vgprValuB_X6_I0+0+0+0+1], v[vgprValuA_X6_I0+12+0+0:vgprValuA_X6_I0+12+0+0+1], a[48:63]
/*  mfmaIndex:76  */
	;; [unrolled: 2-line block ×4, first 2 shown]
/* sched write - iter 6 writesPerItem=1 */
s_waitcnt vmcnt(0)                                 // lgkmcnt=-1 vmcnt=0wait for global read before writing to local
_ds_store_b128 v[vgprLocalWriteAddrB], v[vgprG2LB+16:vgprG2LB+16+3] offset:18432 // lwoB_0_0_4_0 = (0*LSCB)*(MT1J+PAD) + (4*LSPB) = 18432
v_mfma_f32_32x32x8_f16 a[80+0:95+0], v[vgprValuB_X6_I0+4+0+0:vgprValuB_X6_I0+4+0+0+1], v[vgprValuA_X6_I0+4+0+0:vgprValuA_X6_I0+4+0+0+1], a[80:95]
/*  mfmaIndex:79  */
_buffer_load_b128 v[vgprG2LB+16:vgprG2LB+16+3], v[vgprGlobalReadOffsetB+0], s[sgprSrdB:sgprSrdB+3], s[sgprScalarGlobalReadOffsetB+3], offen offset:0 // G -> Reg 0_0_4_0
v_mfma_f32_32x32x8_f16 a[64+0:79+0], v[vgprValuB_X6_I0+4+0+0:vgprValuB_X6_I0+4+0+0+1], v[vgprValuA_X6_I0+0+0+0:vgprValuA_X6_I0+0+0+0+1], a[64:79]
/*  mfmaIndex:80  */
v_mfma_f32_32x32x8_f16 a[128+0:143+0], v[vgprValuB_X6_I0+8+0+0:vgprValuB_X6_I0+8+0+0+1], v[vgprValuA_X6_I0+0+0+0:vgprValuA_X6_I0+0+0+0+1], a[128:143]
/*  mfmaIndex:81  */
	;; [unrolled: 2-line block ×3, first 2 shown]
/* sched write - iter 6 writesPerItem=1 */
s_waitcnt vmcnt(0)                                 // lgkmcnt=-1 vmcnt=0wait for global read before writing to local
_ds_store_b128 v[vgprLocalWriteAddrB], v[vgprG2LB+20:vgprG2LB+20+3] offset:23040 // lwoB_0_0_5_0 = (0*LSCB)*(MT1J+PAD) + (5*LSPB) = 23040
v_mfma_f32_32x32x8_f16 a[160+0:175+0], v[vgprValuB_X6_I0+8+0+0:vgprValuB_X6_I0+8+0+0+1], v[vgprValuA_X6_I0+8+0+0:vgprValuA_X6_I0+8+0+0+1], a[160:175]
/*  mfmaIndex:83  */
_buffer_load_b128 v[vgprG2LB+20:vgprG2LB+20+3], v[vgprGlobalReadOffsetB+0], s[sgprSrdB:sgprSrdB+3], s[sgprScalarGlobalReadOffsetB+4], offen offset:0 // G -> Reg 0_0_5_0

/* local write swap offsets a */

/* local write swap offsets b */

/* local read swap offsets a */

/* local read swap offsets b */

/* local read init pointers a */

/* localReadInitPointers */

/* local read init pointers b */

/* localReadInitPointers */
v_mfma_f32_32x32x8_f16 a[176+0:191+0], v[vgprValuB_X6_I0+8+0+0:vgprValuB_X6_I0+8+0+0+1], v[vgprValuA_X6_I0+12+0+0:vgprValuA_X6_I0+12+0+0+1], a[176:191]


/* iter 7 */

/*  grEndMfmaIndex:4, lwStartMfmaIndex:28, lwEndMfmaIndex:83  */
/*  numMfmaForLR:11, barrierMfmaIndex:84, LocalWritePerMfma:0.240 */
/*  mfmaIndex:84  */
s_waitcnt lgkmcnt(0)                               // lgkmcnt=0 vmcnt=-13wait for local write
// Skip force waitcnt0
s_barrier //
v_mfma_f32_32x32x8_f16 a[0+0:15+0], v[vgprValuB_X6_I0+0+2+0:vgprValuB_X6_I0+0+2+0+1], v[vgprValuA_X6_I0+0+2+0:vgprValuA_X6_I0+0+2+0+1], a[0:15]
/*  mfmaIndex:85  */
_ds_load_b128 v[vgprValuA_X0_I0+0:vgprValuA_X0_I0+0+3], v[vgprLocalReadAddrA] offset:0 // L -> Reg lro=0 swapByteOffset=0 ti=64 vIdx=0 rIdx=0 oIdx=0 buffer=0 iui=0
v_mfma_f32_32x32x8_f16 a[16+0:31+0], v[vgprValuB_X6_I0+0+2+0:vgprValuB_X6_I0+0+2+0+1], v[vgprValuA_X6_I0+4+2+0:vgprValuA_X6_I0+4+2+0+1], a[16:31]
/*  mfmaIndex:86  */
_ds_load_b128 v[vgprValuB_X0_I0+0:vgprValuB_X0_I0+0+3], v[vgprLocalReadAddrB] offset:0 // L -> Reg lro=0 swapByteOffset=0 ti=64 vIdx=0 rIdx=0 oIdx=0 buffer=0 iui=0
v_mfma_f32_32x32x8_f16 a[32+0:47+0], v[vgprValuB_X6_I0+0+2+0:vgprValuB_X6_I0+0+2+0+1], v[vgprValuA_X6_I0+8+2+0:vgprValuA_X6_I0+8+2+0+1], a[32:47]
/*  mfmaIndex:87  */
_ds_load_b128 v[vgprValuA_X0_I0+4:vgprValuA_X0_I0+4+3], v[vgprLocalReadAddrA] offset:9216 // L -> Reg lro=0 swapByteOffset=0 ti=64 vIdx=1 rIdx=0 oIdx=0 buffer=0 iui=0
v_mfma_f32_32x32x8_f16 a[48+0:63+0], v[vgprValuB_X6_I0+0+2+0:vgprValuB_X6_I0+0+2+0+1], v[vgprValuA_X6_I0+12+2+0:vgprValuA_X6_I0+12+2+0+1], a[48:63]
/*  mfmaIndex:88  */
_ds_load_b128 v[vgprValuA_X0_I0+8:vgprValuA_X0_I0+8+3], v[vgprLocalReadAddrA] offset:18432 // L -> Reg lro=0 swapByteOffset=0 ti=64 vIdx=2 rIdx=0 oIdx=0 buffer=0 iui=0
	;; [unrolled: 3-line block ×3, first 2 shown]
v_mfma_f32_32x32x8_f16 a[96+0:111+0], v[vgprValuB_X6_I0+4+2+0:vgprValuB_X6_I0+4+2+0+1], v[vgprValuA_X6_I0+8+2+0:vgprValuA_X6_I0+8+2+0+1], a[96:111]
/*  mfmaIndex:90  */
_ds_load_b128 v[vgprValuB_X0_I0+4:vgprValuB_X0_I0+4+3], v[vgprLocalReadAddrB] offset:9216 // L -> Reg lro=0 swapByteOffset=0 ti=64 vIdx=1 rIdx=0 oIdx=0 buffer=0 iui=0
v_mfma_f32_32x32x8_f16 a[80+0:95+0], v[vgprValuB_X6_I0+4+2+0:vgprValuB_X6_I0+4+2+0+1], v[vgprValuA_X6_I0+4+2+0:vgprValuA_X6_I0+4+2+0+1], a[80:95]
/*  mfmaIndex:91  */
_ds_load_b128 v[vgprValuB_X0_I0+8:vgprValuB_X0_I0+8+3], v[vgprLocalReadAddrB] offset:18432 // L -> Reg lro=0 swapByteOffset=0 ti=64 vIdx=2 rIdx=0 oIdx=0 buffer=0 iui=0
v_mfma_f32_32x32x8_f16 a[64+0:79+0], v[vgprValuB_X6_I0+4+2+0:vgprValuB_X6_I0+4+2+0+1], v[vgprValuA_X6_I0+0+2+0:vgprValuA_X6_I0+0+2+0+1], a[64:79]
/*  mfmaIndex:92  */
v_mfma_f32_32x32x8_f16 a[128+0:143+0], v[vgprValuB_X6_I0+8+2+0:vgprValuB_X6_I0+8+2+0+1], v[vgprValuA_X6_I0+0+2+0:vgprValuA_X6_I0+0+2+0+1], a[128:143]
/*  mfmaIndex:93  */
	;; [unrolled: 2-line block ×4, first 2 shown]
v_mfma_f32_32x32x8_f16 a[176+0:191+0], v[vgprValuB_X6_I0+8+2+0:vgprValuB_X6_I0+8+2+0+1], v[vgprValuA_X6_I0+12+2+0:vgprValuA_X6_I0+12+2+0+1], a[176:191]


/******************************************/
/* Unrolled Loop - End 1/2                */
/******************************************/


/* closeLoop loopL finalLoop=0 tailLoop=0 */
s_sub_u32 s[sgprLoopCounterL], s[sgprLoopCounterL], 1 // dec counterL
s_cmp_eq_i32 s[sgprLoopCounterL], 0x2              // counterL==2
s_cbranch_scc1 LoopEndL_oddexit_3                  // exit LoopL


/******************************************/
/* Unrolled Loop 2/2 - Begin              */
/******************************************/

label_0016: // LoopCopy2 


/* Begin Each Unroll: Check VGPR.checkin for INT8 LW */


	;; [unrolled: 1-line block ×3, first 2 shown]
/* iter 0 */

/*  grEndMfmaIndex:4, lwStartMfmaIndex:28, lwEndMfmaIndex:83  */
/*  numMfmaForLR:11, barrierMfmaIndex:84, LocalWritePerMfma:0.240 */
/*  mfmaIndex:0  */
s_waitcnt lgkmcnt(0)                               // lgkmcnt=0 vmcnt=-1wait for prior local read local write old=0, new=0 newLW=0 newLR=0
v_mfma_f32_32x32x8_f16 a[0+0:15+0], v[vgprValuB_X0_I0+0+0+0:vgprValuB_X0_I0+0+0+0+1], v[vgprValuA_X0_I0+0+0+0:vgprValuA_X0_I0+0+0+0+1], a[0:15]
/*  mfmaIndex:1  */
_ds_load_b128 v[vgprValuA_X2_I0+0:vgprValuA_X2_I0+0+3], v[vgprLocalReadAddrA] offset:32 // L -> Reg lro=16 swapByteOffset=0 ti=64 vIdx=0 rIdx=0 oIdx=0 buffer=2 iui=0

/* global read inc A loopL */
s_add_u32 s[sgprSrdA+0], s[sgprSrdA+0], s[sgprGlobalReadIncsA+0] // gra SRD += inc(lower)
s_addc_u32  s[sgprSrdA+1], s[sgprSrdA+1], 0        // gra SRD += inc(upper)
s_sub_u32 s[sgprShadowLimitA+0], s[sgprShadowLimitA+0], s[sgprGlobalReadIncsA+0] // limit -= inc)
v_mfma_f32_32x32x8_f16 a[16+0:31+0], v[vgprValuB_X0_I0+0+0+0:vgprValuB_X0_I0+0+0+0+1], v[vgprValuA_X0_I0+4+0+0:vgprValuA_X0_I0+4+0+0+1], a[16:31]
/*  mfmaIndex:2  */
_ds_load_b128 v[vgprValuB_X2_I0+0:vgprValuB_X2_I0+0+3], v[vgprLocalReadAddrB] offset:32 // L -> Reg lro=16 swapByteOffset=0 ti=64 vIdx=0 rIdx=0 oIdx=0 buffer=2 iui=0
s_subb_u32 s[sgprShadowLimitA+1], s[sgprShadowLimitA+1], 0 // limit -= inc)
s_cmp_eq_u32 s[sgprShadowLimitA+1], 0              // are we within 2^32?
s_cmov_b32 s[sgprSrdA+2], s[sgprShadowLimitA+0]    // Move shadow to real if we are within 2^32
v_mfma_f32_32x32x8_f16 a[32+0:47+0], v[vgprValuB_X0_I0+0+0+0:vgprValuB_X0_I0+0+0+0+1], v[vgprValuA_X0_I0+8+0+0:vgprValuA_X0_I0+8+0+0+1], a[32:47]
/*  mfmaIndex:3  */
_ds_load_b128 v[vgprValuA_X2_I0+4:vgprValuA_X2_I0+4+3], v[vgprLocalReadAddrA] offset:9248 // L -> Reg lro=16 swapByteOffset=0 ti=64 vIdx=1 rIdx=0 oIdx=0 buffer=2 iui=0

/* global read inc B loopL */
s_add_u32 s[sgprSrdB+0], s[sgprSrdB+0], s[sgprGlobalReadIncsB+0] // gra SRD += inc(lower)
s_addc_u32  s[sgprSrdB+1], s[sgprSrdB+1], 0        // gra SRD += inc(upper)
s_sub_u32 s[sgprShadowLimitB+0], s[sgprShadowLimitB+0], s[sgprGlobalReadIncsB+0] // limit -= inc)
v_mfma_f32_32x32x8_f16 a[48+0:63+0], v[vgprValuB_X0_I0+0+0+0:vgprValuB_X0_I0+0+0+0+1], v[vgprValuA_X0_I0+12+0+0:vgprValuA_X0_I0+12+0+0+1], a[48:63]
/*  mfmaIndex:4  */
_ds_load_b128 v[vgprValuA_X2_I0+8:vgprValuA_X2_I0+8+3], v[vgprLocalReadAddrA] offset:18464 // L -> Reg lro=16 swapByteOffset=0 ti=64 vIdx=2 rIdx=0 oIdx=0 buffer=2 iui=0
s_subb_u32 s[sgprShadowLimitB+1], s[sgprShadowLimitB+1], 0 // limit -= inc)
s_cmp_eq_u32 s[sgprShadowLimitB+1], 0              // are we within 2^32?
s_cmov_b32 s[sgprSrdB+2], s[sgprShadowLimitB+0]    // Move shadow to real if we are within 2^32
v_mfma_f32_32x32x8_f16 a[112+0:127+0], v[vgprValuB_X0_I0+4+0+0:vgprValuB_X0_I0+4+0+0+1], v[vgprValuA_X0_I0+12+0+0:vgprValuA_X0_I0+12+0+0+1], a[112:127]
/*  mfmaIndex:5  */
_ds_load_b128 v[vgprValuA_X2_I0+12:vgprValuA_X2_I0+12+3], v[vgprLocalReadAddrA] offset:27680 // L -> Reg lro=16 swapByteOffset=0 ti=64 vIdx=3 rIdx=0 oIdx=0 buffer=2 iui=0
v_mfma_f32_32x32x8_f16 a[96+0:111+0], v[vgprValuB_X0_I0+4+0+0:vgprValuB_X0_I0+4+0+0+1], v[vgprValuA_X0_I0+8+0+0:vgprValuA_X0_I0+8+0+0+1], a[96:111]
/*  mfmaIndex:6  */
_ds_load_b128 v[vgprValuB_X2_I0+4:vgprValuB_X2_I0+4+3], v[vgprLocalReadAddrB] offset:9248 // L -> Reg lro=16 swapByteOffset=0 ti=64 vIdx=1 rIdx=0 oIdx=0 buffer=2 iui=0
v_mfma_f32_32x32x8_f16 a[80+0:95+0], v[vgprValuB_X0_I0+4+0+0:vgprValuB_X0_I0+4+0+0+1], v[vgprValuA_X0_I0+4+0+0:vgprValuA_X0_I0+4+0+0+1], a[80:95]
/*  mfmaIndex:7  */
_ds_load_b128 v[vgprValuB_X2_I0+8:vgprValuB_X2_I0+8+3], v[vgprLocalReadAddrB] offset:18464 // L -> Reg lro=16 swapByteOffset=0 ti=64 vIdx=2 rIdx=0 oIdx=0 buffer=2 iui=0
/* localReadsVacancy: latencyLeft 2 */
v_mfma_f32_32x32x8_f16 a[64+0:79+0], v[vgprValuB_X0_I0+4+0+0:vgprValuB_X0_I0+4+0+0+1], v[vgprValuA_X0_I0+0+0+0:vgprValuA_X0_I0+0+0+0+1], a[64:79]
/*  mfmaIndex:8  */
/* localReadsVacancy: latencyLeft 6 */
_ds_load_b128 v[vgprValuA_X4_I0+0:vgprValuA_X4_I0+0+3], v[vgprLocalReadAddrA] offset:64 // L -> Reg lro=32 swapByteOffset=0 ti=64 vIdx=0 rIdx=0 oIdx=0 buffer=4 iui=0
v_mfma_f32_32x32x8_f16 a[128+0:143+0], v[vgprValuB_X0_I0+8+0+0:vgprValuB_X0_I0+8+0+0+1], v[vgprValuA_X0_I0+0+0+0:vgprValuA_X0_I0+0+0+0+1], a[128:143]
/*  mfmaIndex:9  */
/* localReadsVacancy: latencyLeft 6 */
_ds_load_b128 v[vgprValuB_X4_I0+0:vgprValuB_X4_I0+0+3], v[vgprLocalReadAddrB] offset:64 // L -> Reg lro=32 swapByteOffset=0 ti=64 vIdx=0 rIdx=0 oIdx=0 buffer=4 iui=0
v_mfma_f32_32x32x8_f16 a[144+0:159+0], v[vgprValuB_X0_I0+8+0+0:vgprValuB_X0_I0+8+0+0+1], v[vgprValuA_X0_I0+4+0+0:vgprValuA_X0_I0+4+0+0+1], a[144:159]
/*  mfmaIndex:10  */
/* localReadsVacancy: latencyLeft 6 */
_ds_load_b128 v[vgprValuA_X4_I0+4:vgprValuA_X4_I0+4+3], v[vgprLocalReadAddrA] offset:9280 // L -> Reg lro=32 swapByteOffset=0 ti=64 vIdx=1 rIdx=0 oIdx=0 buffer=4 iui=0
v_mfma_f32_32x32x8_f16 a[160+0:175+0], v[vgprValuB_X0_I0+8+0+0:vgprValuB_X0_I0+8+0+0+1], v[vgprValuA_X0_I0+8+0+0:vgprValuA_X0_I0+8+0+0+1], a[160:175]
/*  mfmaIndex:11  */
/* localReadsVacancy: latencyLeft 6 */
_ds_load_b128 v[vgprValuA_X4_I0+8:vgprValuA_X4_I0+8+3], v[vgprLocalReadAddrA] offset:18496 // L -> Reg lro=32 swapByteOffset=0 ti=64 vIdx=2 rIdx=0 oIdx=0 buffer=4 iui=0
v_mfma_f32_32x32x8_f16 a[176+0:191+0], v[vgprValuB_X0_I0+8+0+0:vgprValuB_X0_I0+8+0+0+1], v[vgprValuA_X0_I0+12+0+0:vgprValuA_X0_I0+12+0+0+1], a[176:191]
/* numPrefetchIter=0 */
/* dataAtIterA=-1 numReadsIterA=1 skipReadsIterA=1 readsPerIterA=4 */
/* dataAtIterB=-1 numReadsIterB=1 skipReadsIterB=1 readsPerIterB=3 */


/* iter 1 */

/*  grEndMfmaIndex:4, lwStartMfmaIndex:28, lwEndMfmaIndex:83  */
/*  numMfmaForLR:11, barrierMfmaIndex:84, LocalWritePerMfma:0.240 */
/*  mfmaIndex:12  */
_ds_load_b128 v[vgprValuA_X4_I0+12:vgprValuA_X4_I0+12+3], v[vgprLocalReadAddrA] offset:27712 // L -> Reg lro=32 swapByteOffset=0 ti=64 vIdx=3 rIdx=0 oIdx=0 buffer=4 iui=0
s_waitcnt lgkmcnt(12)                              // lgkmcnt=0 vmcnt=-1wait for prior local read local write old=4, new=12 newLW=0 newLR=8
v_mfma_f32_32x32x8_f16 a[0+0:15+0], v[vgprValuB_X0_I0+0+2+0:vgprValuB_X0_I0+0+2+0+1], v[vgprValuA_X0_I0+0+2+0:vgprValuA_X0_I0+0+2+0+1], a[0:15]
/*  mfmaIndex:13  */
_ds_load_b128 v[vgprValuB_X4_I0+4:vgprValuB_X4_I0+4+3], v[vgprLocalReadAddrB] offset:9280 // L -> Reg lro=32 swapByteOffset=0 ti=64 vIdx=1 rIdx=0 oIdx=0 buffer=4 iui=0
v_mfma_f32_32x32x8_f16 a[16+0:31+0], v[vgprValuB_X0_I0+0+2+0:vgprValuB_X0_I0+0+2+0+1], v[vgprValuA_X0_I0+4+2+0:vgprValuA_X0_I0+4+2+0+1], a[16:31]
/*  mfmaIndex:14  */
_ds_load_b128 v[vgprValuB_X4_I0+8:vgprValuB_X4_I0+8+3], v[vgprLocalReadAddrB] offset:18496 // L -> Reg lro=32 swapByteOffset=0 ti=64 vIdx=2 rIdx=0 oIdx=0 buffer=4 iui=0
/* localReadsVacancy: latencyLeft 2 */
v_mfma_f32_32x32x8_f16 a[32+0:47+0], v[vgprValuB_X0_I0+0+2+0:vgprValuB_X0_I0+0+2+0+1], v[vgprValuA_X0_I0+8+2+0:vgprValuA_X0_I0+8+2+0+1], a[32:47]
/*  mfmaIndex:15  */
/* localReadsVacancy: latencyLeft 6 */
_ds_load_b128 v[vgprValuA_X6_I0+0:vgprValuA_X6_I0+0+3], v[vgprLocalReadAddrA] offset:96 // L -> Reg lro=48 swapByteOffset=0 ti=64 vIdx=0 rIdx=0 oIdx=0 buffer=6 iui=0
v_mfma_f32_32x32x8_f16 a[48+0:63+0], v[vgprValuB_X0_I0+0+2+0:vgprValuB_X0_I0+0+2+0+1], v[vgprValuA_X0_I0+12+2+0:vgprValuA_X0_I0+12+2+0+1], a[48:63]
/*  mfmaIndex:16  */
/* localReadsVacancy: latencyLeft 6 */
_ds_load_b128 v[vgprValuB_X6_I0+0:vgprValuB_X6_I0+0+3], v[vgprLocalReadAddrB] offset:96 // L -> Reg lro=48 swapByteOffset=0 ti=64 vIdx=0 rIdx=0 oIdx=0 buffer=6 iui=0
v_mfma_f32_32x32x8_f16 a[112+0:127+0], v[vgprValuB_X0_I0+4+2+0:vgprValuB_X0_I0+4+2+0+1], v[vgprValuA_X0_I0+12+2+0:vgprValuA_X0_I0+12+2+0+1], a[112:127]
/*  mfmaIndex:17  */
/* localReadsVacancy: latencyLeft 6 */
_ds_load_b128 v[vgprValuA_X6_I0+4:vgprValuA_X6_I0+4+3], v[vgprLocalReadAddrA] offset:9312 // L -> Reg lro=48 swapByteOffset=0 ti=64 vIdx=1 rIdx=0 oIdx=0 buffer=6 iui=0
v_mfma_f32_32x32x8_f16 a[96+0:111+0], v[vgprValuB_X0_I0+4+2+0:vgprValuB_X0_I0+4+2+0+1], v[vgprValuA_X0_I0+8+2+0:vgprValuA_X0_I0+8+2+0+1], a[96:111]
/*  mfmaIndex:18  */
/* localReadsVacancy: latencyLeft 6 */
_ds_load_b128 v[vgprValuA_X6_I0+8:vgprValuA_X6_I0+8+3], v[vgprLocalReadAddrA] offset:18528 // L -> Reg lro=48 swapByteOffset=0 ti=64 vIdx=2 rIdx=0 oIdx=0 buffer=6 iui=0
	;; [unrolled: 4-line block ×3, first 2 shown]
v_mfma_f32_32x32x8_f16 a[64+0:79+0], v[vgprValuB_X0_I0+4+2+0:vgprValuB_X0_I0+4+2+0+1], v[vgprValuA_X0_I0+0+2+0:vgprValuA_X0_I0+0+2+0+1], a[64:79]
/*  mfmaIndex:20  */
/* localReadsVacancy: latencyLeft 6 */
_ds_load_b128 v[vgprValuB_X6_I0+4:vgprValuB_X6_I0+4+3], v[vgprLocalReadAddrB] offset:9312 // L -> Reg lro=48 swapByteOffset=0 ti=64 vIdx=1 rIdx=0 oIdx=0 buffer=6 iui=0
v_mfma_f32_32x32x8_f16 a[128+0:143+0], v[vgprValuB_X0_I0+8+2+0:vgprValuB_X0_I0+8+2+0+1], v[vgprValuA_X0_I0+0+2+0:vgprValuA_X0_I0+0+2+0+1], a[128:143]
/*  mfmaIndex:21  */
/* localReadsVacancy: latencyLeft 6 */
_ds_load_b128 v[vgprValuB_X6_I0+8:vgprValuB_X6_I0+8+3], v[vgprLocalReadAddrB] offset:18528 // L -> Reg lro=48 swapByteOffset=0 ti=64 vIdx=2 rIdx=0 oIdx=0 buffer=6 iui=0
v_mfma_f32_32x32x8_f16 a[144+0:159+0], v[vgprValuB_X0_I0+8+2+0:vgprValuB_X0_I0+8+2+0+1], v[vgprValuA_X0_I0+4+2+0:vgprValuA_X0_I0+4+2+0+1], a[144:159]
/*  mfmaIndex:22  */
/* localReadsVacancy: latencyLeft 6 */
v_mfma_f32_32x32x8_f16 a[160+0:175+0], v[vgprValuB_X0_I0+8+2+0:vgprValuB_X0_I0+8+2+0+1], v[vgprValuA_X0_I0+8+2+0:vgprValuA_X0_I0+8+2+0+1], a[160:175]
/*  mfmaIndex:23  */
/* localReadsVacancy: latencyLeft 6 */
v_mfma_f32_32x32x8_f16 a[176+0:191+0], v[vgprValuB_X0_I0+8+2+0:vgprValuB_X0_I0+8+2+0+1], v[vgprValuA_X0_I0+12+2+0:vgprValuA_X0_I0+12+2+0+1], a[176:191]
/* numPrefetchIter=0 */
/* dataAtIterA=-1 numReadsIterA=2 skipReadsIterA=2 readsPerIterA=4 */
/* dataAtIterB=-1 numReadsIterB=2 skipReadsIterB=2 readsPerIterB=3 */


/* iter 2 */

/*  grEndMfmaIndex:4, lwStartMfmaIndex:28, lwEndMfmaIndex:83  */
/*  numMfmaForLR:11, barrierMfmaIndex:84, LocalWritePerMfma:0.240 */
/*  mfmaIndex:24  */
/* localReadsVacancy: latencyLeft 6 */
s_waitcnt lgkmcnt(14)                              // lgkmcnt=0 vmcnt=-1wait for prior local read local write old=7, new=14 newLW=0 newLR=7
v_mfma_f32_32x32x8_f16 a[0+0:15+0], v[vgprValuB_X2_I0+0+0+0:vgprValuB_X2_I0+0+0+0+1], v[vgprValuA_X2_I0+0+0+0:vgprValuA_X2_I0+0+0+0+1], a[0:15]
/*  mfmaIndex:25  */
/* localReadsVacancy: latencyLeft 6 */
v_mfma_f32_32x32x8_f16 a[16+0:31+0], v[vgprValuB_X2_I0+0+0+0:vgprValuB_X2_I0+0+0+0+1], v[vgprValuA_X2_I0+4+0+0:vgprValuA_X2_I0+4+0+0+1], a[16:31]
/*  mfmaIndex:26  */
/* localReadsVacancy: latencyLeft 6 */
	;; [unrolled: 3-line block ×3, first 2 shown]
/* 1 LDS buffer: read-sync-write */
s_waitcnt lgkmcnt(0)                               // 
s_barrier                                          // 
v_mfma_f32_32x32x8_f16 a[48+0:63+0], v[vgprValuB_X2_I0+0+0+0:vgprValuB_X2_I0+0+0+0+1], v[vgprValuA_X2_I0+12+0+0:vgprValuA_X2_I0+12+0+0+1], a[48:63]
/*  mfmaIndex:28  */
/* sched write - iter 2 writesPerItem=1 */
s_waitcnt vmcnt(0)                                 // lgkmcnt=-1 vmcnt=0wait for global read before writing to local
_ds_store_b128 v[vgprLocalWriteAddrA], v[vgprG2LA+0:vgprG2LA+0+3] offset:0 // lwoA_0_0_0_0 = (0*LSCA)*(MT0I+PAD) + (0*LSPA) = 0
v_mfma_f32_32x32x8_f16 a[112+0:127+0], v[vgprValuB_X2_I0+4+0+0:vgprValuB_X2_I0+4+0+0+1], v[vgprValuA_X2_I0+12+0+0:vgprValuA_X2_I0+12+0+0+1], a[112:127]
/*  mfmaIndex:29  */
_buffer_load_b128 v[vgprG2LA+0:vgprG2LA+0+3], v[vgprGlobalReadOffsetA+0], s[sgprSrdA:sgprSrdA+3], 0, offen offset:0 // G -> Reg 0_0_0_0
v_mfma_f32_32x32x8_f16 a[96+0:111+0], v[vgprValuB_X2_I0+4+0+0:vgprValuB_X2_I0+4+0+0+1], v[vgprValuA_X2_I0+8+0+0:vgprValuA_X2_I0+8+0+0+1], a[96:111]
/*  mfmaIndex:30  */
v_mfma_f32_32x32x8_f16 a[80+0:95+0], v[vgprValuB_X2_I0+4+0+0:vgprValuB_X2_I0+4+0+0+1], v[vgprValuA_X2_I0+4+0+0:vgprValuA_X2_I0+4+0+0+1], a[80:95]
/*  mfmaIndex:31  */
	;; [unrolled: 2-line block ×3, first 2 shown]
/* sched write - iter 2 writesPerItem=1 */
s_waitcnt vmcnt(0)                                 // lgkmcnt=-1 vmcnt=0wait for global read before writing to local
_ds_store_b128 v[vgprLocalWriteAddrA], v[vgprG2LA+4:vgprG2LA+4+3] offset:4608 // lwoA_0_0_1_0 = (0*LSCA)*(MT0I+PAD) + (1*LSPA) = 4608
v_mfma_f32_32x32x8_f16 a[128+0:143+0], v[vgprValuB_X2_I0+8+0+0:vgprValuB_X2_I0+8+0+0+1], v[vgprValuA_X2_I0+0+0+0:vgprValuA_X2_I0+0+0+0+1], a[128:143]
/*  mfmaIndex:33  */
_buffer_load_b128 v[vgprG2LA+4:vgprG2LA+4+3], v[vgprGlobalReadOffsetA+0], s[sgprSrdA:sgprSrdA+3], s[sgprScalarGlobalReadOffsetA+0], offen offset:0 // G -> Reg 0_0_1_0
v_mfma_f32_32x32x8_f16 a[144+0:159+0], v[vgprValuB_X2_I0+8+0+0:vgprValuB_X2_I0+8+0+0+1], v[vgprValuA_X2_I0+4+0+0:vgprValuA_X2_I0+4+0+0+1], a[144:159]
/*  mfmaIndex:34  */
v_mfma_f32_32x32x8_f16 a[160+0:175+0], v[vgprValuB_X2_I0+8+0+0:vgprValuB_X2_I0+8+0+0+1], v[vgprValuA_X2_I0+8+0+0:vgprValuA_X2_I0+8+0+0+1], a[160:175]
/*  mfmaIndex:35  */
v_mfma_f32_32x32x8_f16 a[176+0:191+0], v[vgprValuB_X2_I0+8+0+0:vgprValuB_X2_I0+8+0+0+1], v[vgprValuA_X2_I0+12+0+0:vgprValuA_X2_I0+12+0+0+1], a[176:191]
/* numPrefetchIter=0 */
/* dataAtIterA=0 numReadsIterA=3 skipReadsIterA=2 readsPerIterA=4 */
/* dataAtIterB=0 numReadsIterB=3 skipReadsIterB=2 readsPerIterB=3 */


/* iter 3 */

/*  grEndMfmaIndex:4, lwStartMfmaIndex:28, lwEndMfmaIndex:83  */
/*  numMfmaForLR:11, barrierMfmaIndex:84, LocalWritePerMfma:0.240 */
/*  mfmaIndex:36  */
/* sched write - iter 3 writesPerItem=1 */
s_waitcnt vmcnt(0)                                 // lgkmcnt=-1 vmcnt=0wait for global read before writing to local
_ds_store_b128 v[vgprLocalWriteAddrA], v[vgprG2LA+8:vgprG2LA+8+3] offset:9216 // lwoA_0_0_2_0 = (0*LSCA)*(MT0I+PAD) + (2*LSPA) = 9216
v_mfma_f32_32x32x8_f16 a[0+0:15+0], v[vgprValuB_X2_I0+0+2+0:vgprValuB_X2_I0+0+2+0+1], v[vgprValuA_X2_I0+0+2+0:vgprValuA_X2_I0+0+2+0+1], a[0:15]
/*  mfmaIndex:37  */
_buffer_load_b128 v[vgprG2LA+8:vgprG2LA+8+3], v[vgprGlobalReadOffsetA+0], s[sgprSrdA:sgprSrdA+3], s[sgprScalarGlobalReadOffsetA+1], offen offset:0 // G -> Reg 0_0_2_0
v_mfma_f32_32x32x8_f16 a[16+0:31+0], v[vgprValuB_X2_I0+0+2+0:vgprValuB_X2_I0+0+2+0+1], v[vgprValuA_X2_I0+4+2+0:vgprValuA_X2_I0+4+2+0+1], a[16:31]
/*  mfmaIndex:38  */
v_mfma_f32_32x32x8_f16 a[32+0:47+0], v[vgprValuB_X2_I0+0+2+0:vgprValuB_X2_I0+0+2+0+1], v[vgprValuA_X2_I0+8+2+0:vgprValuA_X2_I0+8+2+0+1], a[32:47]
/*  mfmaIndex:39  */
	;; [unrolled: 2-line block ×3, first 2 shown]
/* sched write - iter 3 writesPerItem=1 */
s_waitcnt vmcnt(0)                                 // lgkmcnt=-1 vmcnt=0wait for global read before writing to local
_ds_store_b128 v[vgprLocalWriteAddrA], v[vgprG2LA+12:vgprG2LA+12+3] offset:13824 // lwoA_0_0_3_0 = (0*LSCA)*(MT0I+PAD) + (3*LSPA) = 13824
v_mfma_f32_32x32x8_f16 a[112+0:127+0], v[vgprValuB_X2_I0+4+2+0:vgprValuB_X2_I0+4+2+0+1], v[vgprValuA_X2_I0+12+2+0:vgprValuA_X2_I0+12+2+0+1], a[112:127]
/*  mfmaIndex:41  */
_buffer_load_b128 v[vgprG2LA+12:vgprG2LA+12+3], v[vgprGlobalReadOffsetA+0], s[sgprSrdA:sgprSrdA+3], s[sgprScalarGlobalReadOffsetA+2], offen offset:0 // G -> Reg 0_0_3_0
v_mfma_f32_32x32x8_f16 a[96+0:111+0], v[vgprValuB_X2_I0+4+2+0:vgprValuB_X2_I0+4+2+0+1], v[vgprValuA_X2_I0+8+2+0:vgprValuA_X2_I0+8+2+0+1], a[96:111]
/*  mfmaIndex:42  */
v_mfma_f32_32x32x8_f16 a[80+0:95+0], v[vgprValuB_X2_I0+4+2+0:vgprValuB_X2_I0+4+2+0+1], v[vgprValuA_X2_I0+4+2+0:vgprValuA_X2_I0+4+2+0+1], a[80:95]
/*  mfmaIndex:43  */
	;; [unrolled: 2-line block ×3, first 2 shown]
/* sched write - iter 3 writesPerItem=1 */
s_waitcnt vmcnt(0)                                 // lgkmcnt=-1 vmcnt=0wait for global read before writing to local
_ds_store_b128 v[vgprLocalWriteAddrA], v[vgprG2LA+16:vgprG2LA+16+3] offset:18432 // lwoA_0_0_4_0 = (0*LSCA)*(MT0I+PAD) + (4*LSPA) = 18432
v_mfma_f32_32x32x8_f16 a[128+0:143+0], v[vgprValuB_X2_I0+8+2+0:vgprValuB_X2_I0+8+2+0+1], v[vgprValuA_X2_I0+0+2+0:vgprValuA_X2_I0+0+2+0+1], a[128:143]
/*  mfmaIndex:45  */
_buffer_load_b128 v[vgprG2LA+16:vgprG2LA+16+3], v[vgprGlobalReadOffsetA+0], s[sgprSrdA:sgprSrdA+3], s[sgprScalarGlobalReadOffsetA+3], offen offset:0 // G -> Reg 0_0_4_0
v_mfma_f32_32x32x8_f16 a[144+0:159+0], v[vgprValuB_X2_I0+8+2+0:vgprValuB_X2_I0+8+2+0+1], v[vgprValuA_X2_I0+4+2+0:vgprValuA_X2_I0+4+2+0+1], a[144:159]
/*  mfmaIndex:46  */
v_mfma_f32_32x32x8_f16 a[160+0:175+0], v[vgprValuB_X2_I0+8+2+0:vgprValuB_X2_I0+8+2+0+1], v[vgprValuA_X2_I0+8+2+0:vgprValuA_X2_I0+8+2+0+1], a[160:175]
/*  mfmaIndex:47  */
v_mfma_f32_32x32x8_f16 a[176+0:191+0], v[vgprValuB_X2_I0+8+2+0:vgprValuB_X2_I0+8+2+0+1], v[vgprValuA_X2_I0+12+2+0:vgprValuA_X2_I0+12+2+0+1], a[176:191]


/* iter 4 */

/*  grEndMfmaIndex:4, lwStartMfmaIndex:28, lwEndMfmaIndex:83  */
/*  numMfmaForLR:11, barrierMfmaIndex:84, LocalWritePerMfma:0.240 */
/*  mfmaIndex:48  */
/* sched write - iter 4 writesPerItem=1 */
s_waitcnt vmcnt(0)                                 // lgkmcnt=-1 vmcnt=0wait for global read before writing to local
_ds_store_b128 v[vgprLocalWriteAddrA], v[vgprG2LA+20:vgprG2LA+20+3] offset:23040 // lwoA_0_0_5_0 = (0*LSCA)*(MT0I+PAD) + (5*LSPA) = 23040
v_mfma_f32_32x32x8_f16 a[0+0:15+0], v[vgprValuB_X4_I0+0+0+0:vgprValuB_X4_I0+0+0+0+1], v[vgprValuA_X4_I0+0+0+0:vgprValuA_X4_I0+0+0+0+1], a[0:15]
/*  mfmaIndex:49  */
_buffer_load_b128 v[vgprG2LA+20:vgprG2LA+20+3], v[vgprGlobalReadOffsetA+0], s[sgprSrdA:sgprSrdA+3], s[sgprScalarGlobalReadOffsetA+4], offen offset:0 // G -> Reg 0_0_5_0
v_mfma_f32_32x32x8_f16 a[16+0:31+0], v[vgprValuB_X4_I0+0+0+0:vgprValuB_X4_I0+0+0+0+1], v[vgprValuA_X4_I0+4+0+0:vgprValuA_X4_I0+4+0+0+1], a[16:31]
/*  mfmaIndex:50  */
v_mfma_f32_32x32x8_f16 a[32+0:47+0], v[vgprValuB_X4_I0+0+0+0:vgprValuB_X4_I0+0+0+0+1], v[vgprValuA_X4_I0+8+0+0:vgprValuA_X4_I0+8+0+0+1], a[32:47]
/*  mfmaIndex:51  */
	;; [unrolled: 2-line block ×4, first 2 shown]
/* sched write - iter 4 writesPerItem=1 */
s_waitcnt vmcnt(0)                                 // lgkmcnt=-1 vmcnt=0wait for global read before writing to local
_ds_store_b128 v[vgprLocalWriteAddrA], v[vgprG2LA+24:vgprG2LA+24+3] offset:27648 // lwoA_0_0_6_0 = (0*LSCA)*(MT0I+PAD) + (6*LSPA) = 27648
v_mfma_f32_32x32x8_f16 a[96+0:111+0], v[vgprValuB_X4_I0+4+0+0:vgprValuB_X4_I0+4+0+0+1], v[vgprValuA_X4_I0+8+0+0:vgprValuA_X4_I0+8+0+0+1], a[96:111]
/*  mfmaIndex:54  */
_buffer_load_b128 v[vgprG2LA+24:vgprG2LA+24+3], v[vgprGlobalReadOffsetA+0], s[sgprSrdA:sgprSrdA+3], s[sgprScalarGlobalReadOffsetA+5], offen offset:0 // G -> Reg 0_0_6_0
v_mfma_f32_32x32x8_f16 a[80+0:95+0], v[vgprValuB_X4_I0+4+0+0:vgprValuB_X4_I0+4+0+0+1], v[vgprValuA_X4_I0+4+0+0:vgprValuA_X4_I0+4+0+0+1], a[80:95]
/*  mfmaIndex:55  */
v_mfma_f32_32x32x8_f16 a[64+0:79+0], v[vgprValuB_X4_I0+4+0+0:vgprValuB_X4_I0+4+0+0+1], v[vgprValuA_X4_I0+0+0+0:vgprValuA_X4_I0+0+0+0+1], a[64:79]
/*  mfmaIndex:56  */
	;; [unrolled: 2-line block ×3, first 2 shown]
/* sched write - iter 4 writesPerItem=1 */
s_waitcnt vmcnt(0)                                 // lgkmcnt=-1 vmcnt=0wait for global read before writing to local
_ds_store_b128 v[vgprLocalWriteAddrA], v[vgprG2LA+28:vgprG2LA+28+3] offset:32256 // lwoA_0_0_7_0 = (0*LSCA)*(MT0I+PAD) + (7*LSPA) = 32256
v_mfma_f32_32x32x8_f16 a[144+0:159+0], v[vgprValuB_X4_I0+8+0+0:vgprValuB_X4_I0+8+0+0+1], v[vgprValuA_X4_I0+4+0+0:vgprValuA_X4_I0+4+0+0+1], a[144:159]
/*  mfmaIndex:58  */
_buffer_load_b128 v[vgprG2LA+28:vgprG2LA+28+3], v[vgprGlobalReadOffsetA+0], s[sgprSrdA:sgprSrdA+3], s[sgprScalarGlobalReadOffsetA+6], offen offset:0 // G -> Reg 0_0_7_0
v_mfma_f32_32x32x8_f16 a[160+0:175+0], v[vgprValuB_X4_I0+8+0+0:vgprValuB_X4_I0+8+0+0+1], v[vgprValuA_X4_I0+8+0+0:vgprValuA_X4_I0+8+0+0+1], a[160:175]
/*  mfmaIndex:59  */
v_mfma_f32_32x32x8_f16 a[176+0:191+0], v[vgprValuB_X4_I0+8+0+0:vgprValuB_X4_I0+8+0+0+1], v[vgprValuA_X4_I0+12+0+0:vgprValuA_X4_I0+12+0+0+1], a[176:191]


/* iter 5 */

/*  grEndMfmaIndex:4, lwStartMfmaIndex:28, lwEndMfmaIndex:83  */
/*  numMfmaForLR:11, barrierMfmaIndex:84, LocalWritePerMfma:0.240 */
/*  mfmaIndex:60  */
v_mfma_f32_32x32x8_f16 a[0+0:15+0], v[vgprValuB_X4_I0+0+2+0:vgprValuB_X4_I0+0+2+0+1], v[vgprValuA_X4_I0+0+2+0:vgprValuA_X4_I0+0+2+0+1], a[0:15]
/*  mfmaIndex:61  */
/* sched write - iter 5 writesPerItem=1 */
s_waitcnt vmcnt(0)                                 // lgkmcnt=-1 vmcnt=0wait for global read before writing to local
_ds_store_b128 v[vgprLocalWriteAddrB], v[vgprG2LB+0:vgprG2LB+0+3] offset:0 // lwoB_0_0_0_0 = (0*LSCB)*(MT1J+PAD) + (0*LSPB) = 0
v_mfma_f32_32x32x8_f16 a[16+0:31+0], v[vgprValuB_X4_I0+0+2+0:vgprValuB_X4_I0+0+2+0+1], v[vgprValuA_X4_I0+4+2+0:vgprValuA_X4_I0+4+2+0+1], a[16:31]
/*  mfmaIndex:62  */
_buffer_load_b128 v[vgprG2LB+0:vgprG2LB+0+3], v[vgprGlobalReadOffsetB+0], s[sgprSrdB:sgprSrdB+3], 0, offen offset:0 // G -> Reg 0_0_0_0
v_mfma_f32_32x32x8_f16 a[32+0:47+0], v[vgprValuB_X4_I0+0+2+0:vgprValuB_X4_I0+0+2+0+1], v[vgprValuA_X4_I0+8+2+0:vgprValuA_X4_I0+8+2+0+1], a[32:47]
/*  mfmaIndex:63  */
v_mfma_f32_32x32x8_f16 a[48+0:63+0], v[vgprValuB_X4_I0+0+2+0:vgprValuB_X4_I0+0+2+0+1], v[vgprValuA_X4_I0+12+2+0:vgprValuA_X4_I0+12+2+0+1], a[48:63]
/*  mfmaIndex:64  */
	;; [unrolled: 2-line block ×3, first 2 shown]
/* sched write - iter 5 writesPerItem=1 */
s_waitcnt vmcnt(0)                                 // lgkmcnt=-1 vmcnt=0wait for global read before writing to local
_ds_store_b128 v[vgprLocalWriteAddrB], v[vgprG2LB+4:vgprG2LB+4+3] offset:4608 // lwoB_0_0_1_0 = (0*LSCB)*(MT1J+PAD) + (1*LSPB) = 4608
v_mfma_f32_32x32x8_f16 a[96+0:111+0], v[vgprValuB_X4_I0+4+2+0:vgprValuB_X4_I0+4+2+0+1], v[vgprValuA_X4_I0+8+2+0:vgprValuA_X4_I0+8+2+0+1], a[96:111]
/*  mfmaIndex:66  */
_buffer_load_b128 v[vgprG2LB+4:vgprG2LB+4+3], v[vgprGlobalReadOffsetB+0], s[sgprSrdB:sgprSrdB+3], s[sgprScalarGlobalReadOffsetB+0], offen offset:0 // G -> Reg 0_0_1_0
v_mfma_f32_32x32x8_f16 a[80+0:95+0], v[vgprValuB_X4_I0+4+2+0:vgprValuB_X4_I0+4+2+0+1], v[vgprValuA_X4_I0+4+2+0:vgprValuA_X4_I0+4+2+0+1], a[80:95]
/*  mfmaIndex:67  */
v_mfma_f32_32x32x8_f16 a[64+0:79+0], v[vgprValuB_X4_I0+4+2+0:vgprValuB_X4_I0+4+2+0+1], v[vgprValuA_X4_I0+0+2+0:vgprValuA_X4_I0+0+2+0+1], a[64:79]
/*  mfmaIndex:68  */
	;; [unrolled: 2-line block ×3, first 2 shown]
/* sched write - iter 5 writesPerItem=1 */
s_waitcnt vmcnt(0)                                 // lgkmcnt=-1 vmcnt=0wait for global read before writing to local
_ds_store_b128 v[vgprLocalWriteAddrB], v[vgprG2LB+8:vgprG2LB+8+3] offset:9216 // lwoB_0_0_2_0 = (0*LSCB)*(MT1J+PAD) + (2*LSPB) = 9216
v_mfma_f32_32x32x8_f16 a[144+0:159+0], v[vgprValuB_X4_I0+8+2+0:vgprValuB_X4_I0+8+2+0+1], v[vgprValuA_X4_I0+4+2+0:vgprValuA_X4_I0+4+2+0+1], a[144:159]
/*  mfmaIndex:70  */
_buffer_load_b128 v[vgprG2LB+8:vgprG2LB+8+3], v[vgprGlobalReadOffsetB+0], s[sgprSrdB:sgprSrdB+3], s[sgprScalarGlobalReadOffsetB+1], offen offset:0 // G -> Reg 0_0_2_0
v_mfma_f32_32x32x8_f16 a[160+0:175+0], v[vgprValuB_X4_I0+8+2+0:vgprValuB_X4_I0+8+2+0+1], v[vgprValuA_X4_I0+8+2+0:vgprValuA_X4_I0+8+2+0+1], a[160:175]
/*  mfmaIndex:71  */
v_mfma_f32_32x32x8_f16 a[176+0:191+0], v[vgprValuB_X4_I0+8+2+0:vgprValuB_X4_I0+8+2+0+1], v[vgprValuA_X4_I0+12+2+0:vgprValuA_X4_I0+12+2+0+1], a[176:191]


/* iter 6 (reset local read pointers iteration)  (swap and reset local write pointers iteration)  (swap local read pointers iteration)  */

/*  grEndMfmaIndex:4, lwStartMfmaIndex:28, lwEndMfmaIndex:83  */
/*  numMfmaForLR:11, barrierMfmaIndex:84, LocalWritePerMfma:0.240 */
/*  mfmaIndex:72  */
v_mfma_f32_32x32x8_f16 a[0+0:15+0], v[vgprValuB_X6_I0+0+0+0:vgprValuB_X6_I0+0+0+0+1], v[vgprValuA_X6_I0+0+0+0:vgprValuA_X6_I0+0+0+0+1], a[0:15]
/*  mfmaIndex:73  */
/* sched write - iter 6 writesPerItem=1 */
s_waitcnt vmcnt(0)                                 // lgkmcnt=-1 vmcnt=0wait for global read before writing to local
_ds_store_b128 v[vgprLocalWriteAddrB], v[vgprG2LB+12:vgprG2LB+12+3] offset:13824 // lwoB_0_0_3_0 = (0*LSCB)*(MT1J+PAD) + (3*LSPB) = 13824
v_mfma_f32_32x32x8_f16 a[16+0:31+0], v[vgprValuB_X6_I0+0+0+0:vgprValuB_X6_I0+0+0+0+1], v[vgprValuA_X6_I0+4+0+0:vgprValuA_X6_I0+4+0+0+1], a[16:31]
/*  mfmaIndex:74  */
_buffer_load_b128 v[vgprG2LB+12:vgprG2LB+12+3], v[vgprGlobalReadOffsetB+0], s[sgprSrdB:sgprSrdB+3], s[sgprScalarGlobalReadOffsetB+2], offen offset:0 // G -> Reg 0_0_3_0
v_mfma_f32_32x32x8_f16 a[32+0:47+0], v[vgprValuB_X6_I0+0+0+0:vgprValuB_X6_I0+0+0+0+1], v[vgprValuA_X6_I0+8+0+0:vgprValuA_X6_I0+8+0+0+1], a[32:47]
/*  mfmaIndex:75  */
v_mfma_f32_32x32x8_f16 a[48+0:63+0], v[vgprValuB_X6_I0+0+0+0:vgprValuB_X6_I0+0+0+0+1], v[vgprValuA_X6_I0+12+0+0:vgprValuA_X6_I0+12+0+0+1], a[48:63]
/*  mfmaIndex:76  */
	;; [unrolled: 2-line block ×4, first 2 shown]
/* sched write - iter 6 writesPerItem=1 */
s_waitcnt vmcnt(0)                                 // lgkmcnt=-1 vmcnt=0wait for global read before writing to local
_ds_store_b128 v[vgprLocalWriteAddrB], v[vgprG2LB+16:vgprG2LB+16+3] offset:18432 // lwoB_0_0_4_0 = (0*LSCB)*(MT1J+PAD) + (4*LSPB) = 18432
v_mfma_f32_32x32x8_f16 a[80+0:95+0], v[vgprValuB_X6_I0+4+0+0:vgprValuB_X6_I0+4+0+0+1], v[vgprValuA_X6_I0+4+0+0:vgprValuA_X6_I0+4+0+0+1], a[80:95]
/*  mfmaIndex:79  */
_buffer_load_b128 v[vgprG2LB+16:vgprG2LB+16+3], v[vgprGlobalReadOffsetB+0], s[sgprSrdB:sgprSrdB+3], s[sgprScalarGlobalReadOffsetB+3], offen offset:0 // G -> Reg 0_0_4_0
v_mfma_f32_32x32x8_f16 a[64+0:79+0], v[vgprValuB_X6_I0+4+0+0:vgprValuB_X6_I0+4+0+0+1], v[vgprValuA_X6_I0+0+0+0:vgprValuA_X6_I0+0+0+0+1], a[64:79]
/*  mfmaIndex:80  */
v_mfma_f32_32x32x8_f16 a[128+0:143+0], v[vgprValuB_X6_I0+8+0+0:vgprValuB_X6_I0+8+0+0+1], v[vgprValuA_X6_I0+0+0+0:vgprValuA_X6_I0+0+0+0+1], a[128:143]
/*  mfmaIndex:81  */
v_mfma_f32_32x32x8_f16 a[144+0:159+0], v[vgprValuB_X6_I0+8+0+0:vgprValuB_X6_I0+8+0+0+1], v[vgprValuA_X6_I0+4+0+0:vgprValuA_X6_I0+4+0+0+1], a[144:159]
/*  mfmaIndex:82  */
/* sched write - iter 6 writesPerItem=1 */
s_waitcnt vmcnt(0)                                 // lgkmcnt=-1 vmcnt=0wait for global read before writing to local
_ds_store_b128 v[vgprLocalWriteAddrB], v[vgprG2LB+20:vgprG2LB+20+3] offset:23040 // lwoB_0_0_5_0 = (0*LSCB)*(MT1J+PAD) + (5*LSPB) = 23040
v_mfma_f32_32x32x8_f16 a[160+0:175+0], v[vgprValuB_X6_I0+8+0+0:vgprValuB_X6_I0+8+0+0+1], v[vgprValuA_X6_I0+8+0+0:vgprValuA_X6_I0+8+0+0+1], a[160:175]
/*  mfmaIndex:83  */
_buffer_load_b128 v[vgprG2LB+20:vgprG2LB+20+3], v[vgprGlobalReadOffsetB+0], s[sgprSrdB:sgprSrdB+3], s[sgprScalarGlobalReadOffsetB+4], offen offset:0 // G -> Reg 0_0_5_0

/* local write swap offsets a */

/* local write swap offsets b */

/* local read swap offsets a */

/* local read swap offsets b */

/* local read init pointers a */

/* localReadInitPointers */

/* local read init pointers b */

/* localReadInitPointers */
v_mfma_f32_32x32x8_f16 a[176+0:191+0], v[vgprValuB_X6_I0+8+0+0:vgprValuB_X6_I0+8+0+0+1], v[vgprValuA_X6_I0+12+0+0:vgprValuA_X6_I0+12+0+0+1], a[176:191]


/* iter 7 */

/*  grEndMfmaIndex:4, lwStartMfmaIndex:28, lwEndMfmaIndex:83  */
/*  numMfmaForLR:11, barrierMfmaIndex:84, LocalWritePerMfma:0.240 */
/*  mfmaIndex:84  */
s_waitcnt lgkmcnt(0)                               // lgkmcnt=0 vmcnt=-13wait for local write
// Skip force waitcnt0
s_barrier //
v_mfma_f32_32x32x8_f16 a[0+0:15+0], v[vgprValuB_X6_I0+0+2+0:vgprValuB_X6_I0+0+2+0+1], v[vgprValuA_X6_I0+0+2+0:vgprValuA_X6_I0+0+2+0+1], a[0:15]
/*  mfmaIndex:85  */
_ds_load_b128 v[vgprValuA_X0_I0+0:vgprValuA_X0_I0+0+3], v[vgprLocalReadAddrA] offset:0 // L -> Reg lro=0 swapByteOffset=0 ti=64 vIdx=0 rIdx=0 oIdx=0 buffer=0 iui=0
v_mfma_f32_32x32x8_f16 a[16+0:31+0], v[vgprValuB_X6_I0+0+2+0:vgprValuB_X6_I0+0+2+0+1], v[vgprValuA_X6_I0+4+2+0:vgprValuA_X6_I0+4+2+0+1], a[16:31]
/*  mfmaIndex:86  */
_ds_load_b128 v[vgprValuB_X0_I0+0:vgprValuB_X0_I0+0+3], v[vgprLocalReadAddrB] offset:0 // L -> Reg lro=0 swapByteOffset=0 ti=64 vIdx=0 rIdx=0 oIdx=0 buffer=0 iui=0
v_mfma_f32_32x32x8_f16 a[32+0:47+0], v[vgprValuB_X6_I0+0+2+0:vgprValuB_X6_I0+0+2+0+1], v[vgprValuA_X6_I0+8+2+0:vgprValuA_X6_I0+8+2+0+1], a[32:47]
/*  mfmaIndex:87  */
_ds_load_b128 v[vgprValuA_X0_I0+4:vgprValuA_X0_I0+4+3], v[vgprLocalReadAddrA] offset:9216 // L -> Reg lro=0 swapByteOffset=0 ti=64 vIdx=1 rIdx=0 oIdx=0 buffer=0 iui=0
v_mfma_f32_32x32x8_f16 a[48+0:63+0], v[vgprValuB_X6_I0+0+2+0:vgprValuB_X6_I0+0+2+0+1], v[vgprValuA_X6_I0+12+2+0:vgprValuA_X6_I0+12+2+0+1], a[48:63]
/*  mfmaIndex:88  */
_ds_load_b128 v[vgprValuA_X0_I0+8:vgprValuA_X0_I0+8+3], v[vgprLocalReadAddrA] offset:18432 // L -> Reg lro=0 swapByteOffset=0 ti=64 vIdx=2 rIdx=0 oIdx=0 buffer=0 iui=0
v_mfma_f32_32x32x8_f16 a[112+0:127+0], v[vgprValuB_X6_I0+4+2+0:vgprValuB_X6_I0+4+2+0+1], v[vgprValuA_X6_I0+12+2+0:vgprValuA_X6_I0+12+2+0+1], a[112:127]
/*  mfmaIndex:89  */
_ds_load_b128 v[vgprValuA_X0_I0+12:vgprValuA_X0_I0+12+3], v[vgprLocalReadAddrA] offset:27648 // L -> Reg lro=0 swapByteOffset=0 ti=64 vIdx=3 rIdx=0 oIdx=0 buffer=0 iui=0
v_mfma_f32_32x32x8_f16 a[96+0:111+0], v[vgprValuB_X6_I0+4+2+0:vgprValuB_X6_I0+4+2+0+1], v[vgprValuA_X6_I0+8+2+0:vgprValuA_X6_I0+8+2+0+1], a[96:111]
/*  mfmaIndex:90  */
_ds_load_b128 v[vgprValuB_X0_I0+4:vgprValuB_X0_I0+4+3], v[vgprLocalReadAddrB] offset:9216 // L -> Reg lro=0 swapByteOffset=0 ti=64 vIdx=1 rIdx=0 oIdx=0 buffer=0 iui=0
v_mfma_f32_32x32x8_f16 a[80+0:95+0], v[vgprValuB_X6_I0+4+2+0:vgprValuB_X6_I0+4+2+0+1], v[vgprValuA_X6_I0+4+2+0:vgprValuA_X6_I0+4+2+0+1], a[80:95]
/*  mfmaIndex:91  */
_ds_load_b128 v[vgprValuB_X0_I0+8:vgprValuB_X0_I0+8+3], v[vgprLocalReadAddrB] offset:18432 // L -> Reg lro=0 swapByteOffset=0 ti=64 vIdx=2 rIdx=0 oIdx=0 buffer=0 iui=0
v_mfma_f32_32x32x8_f16 a[64+0:79+0], v[vgprValuB_X6_I0+4+2+0:vgprValuB_X6_I0+4+2+0+1], v[vgprValuA_X6_I0+0+2+0:vgprValuA_X6_I0+0+2+0+1], a[64:79]
/*  mfmaIndex:92  */
v_mfma_f32_32x32x8_f16 a[128+0:143+0], v[vgprValuB_X6_I0+8+2+0:vgprValuB_X6_I0+8+2+0+1], v[vgprValuA_X6_I0+0+2+0:vgprValuA_X6_I0+0+2+0+1], a[128:143]
/*  mfmaIndex:93  */
v_mfma_f32_32x32x8_f16 a[144+0:159+0], v[vgprValuB_X6_I0+8+2+0:vgprValuB_X6_I0+8+2+0+1], v[vgprValuA_X6_I0+4+2+0:vgprValuA_X6_I0+4+2+0+1], a[144:159]
/*  mfmaIndex:94  */
v_mfma_f32_32x32x8_f16 a[160+0:175+0], v[vgprValuB_X6_I0+8+2+0:vgprValuB_X6_I0+8+2+0+1], v[vgprValuA_X6_I0+8+2+0:vgprValuA_X6_I0+8+2+0+1], a[160:175]
/*  mfmaIndex:95  */
v_mfma_f32_32x32x8_f16 a[176+0:191+0], v[vgprValuB_X6_I0+8+2+0:vgprValuB_X6_I0+8+2+0+1], v[vgprValuA_X6_I0+12+2+0:vgprValuA_X6_I0+12+2+0+1], a[176:191]


/******************************************/
/* Unrolled Loop - End 2/2 (final)        */
/******************************************/


/* closeLoop loopL finalLoop=1 tailLoop=0 */
s_sub_u32 s[sgprLoopCounterL], s[sgprLoopCounterL], 1 // dec counterL
s_cmp_eq_i32 s[sgprLoopCounterL], 0x2              // counterL==2
s_cbranch_scc0 LoopBeginL_1                        // restart LoopL
LoopEndL_evenexit_4: // unroll loop eveniter exit
s_branch LoopEndL_2                                // exit unroll loopL (and skip second exit code)
LoopEndL_oddexit_3: // unroll loop odditer exit

/* Select high bank of LDS */
LoopEndL_2:


/* Before NLL: Check VGPR.checkin for INT8 LW */


/******************************************/
/* Ord. NoGlobalLoadLoop - Begin                                      */
/******************************************/


	;; [unrolled: 1-line block ×3, first 2 shown]
/* iter 0 */

/*  grEndMfmaIndex:4, lwStartMfmaIndex:28, lwEndMfmaIndex:83  */
/*  numMfmaForLR:11, barrierMfmaIndex:84, LocalWritePerMfma:0.240 */
/*  mfmaIndex:0  */
s_waitcnt lgkmcnt(0)                               // lgkmcnt=0 vmcnt=-1wait for prior local read local write old=0, new=0 newLW=0 newLR=0
v_mfma_f32_32x32x8_f16 a[0+0:15+0], v[vgprValuB_X0_I0+0+0+0:vgprValuB_X0_I0+0+0+0+1], v[vgprValuA_X0_I0+0+0+0:vgprValuA_X0_I0+0+0+0+1], a[0:15]
/*  mfmaIndex:1  */
_ds_load_b128 v[vgprValuA_X2_I0+0:vgprValuA_X2_I0+0+3], v[vgprLocalReadAddrA] offset:32 // L -> Reg lro=16 swapByteOffset=0 ti=64 vIdx=0 rIdx=0 oIdx=0 buffer=2 iui=0

/* global read inc A loopL */
s_add_u32 s[sgprSrdA+0], s[sgprSrdA+0], s[sgprGlobalReadIncsA+0] // gra SRD += inc(lower)
s_addc_u32  s[sgprSrdA+1], s[sgprSrdA+1], 0        // gra SRD += inc(upper)
s_sub_u32 s[sgprShadowLimitA+0], s[sgprShadowLimitA+0], s[sgprGlobalReadIncsA+0] // limit -= inc)
v_mfma_f32_32x32x8_f16 a[16+0:31+0], v[vgprValuB_X0_I0+0+0+0:vgprValuB_X0_I0+0+0+0+1], v[vgprValuA_X0_I0+4+0+0:vgprValuA_X0_I0+4+0+0+1], a[16:31]
/*  mfmaIndex:2  */
_ds_load_b128 v[vgprValuB_X2_I0+0:vgprValuB_X2_I0+0+3], v[vgprLocalReadAddrB] offset:32 // L -> Reg lro=16 swapByteOffset=0 ti=64 vIdx=0 rIdx=0 oIdx=0 buffer=2 iui=0
s_subb_u32 s[sgprShadowLimitA+1], s[sgprShadowLimitA+1], 0 // limit -= inc)
s_cmp_eq_u32 s[sgprShadowLimitA+1], 0              // are we within 2^32?
s_cmov_b32 s[sgprSrdA+2], s[sgprShadowLimitA+0]    // Move shadow to real if we are within 2^32
v_mfma_f32_32x32x8_f16 a[32+0:47+0], v[vgprValuB_X0_I0+0+0+0:vgprValuB_X0_I0+0+0+0+1], v[vgprValuA_X0_I0+8+0+0:vgprValuA_X0_I0+8+0+0+1], a[32:47]
/*  mfmaIndex:3  */
_ds_load_b128 v[vgprValuA_X2_I0+4:vgprValuA_X2_I0+4+3], v[vgprLocalReadAddrA] offset:9248 // L -> Reg lro=16 swapByteOffset=0 ti=64 vIdx=1 rIdx=0 oIdx=0 buffer=2 iui=0

/* global read inc B loopL */
s_add_u32 s[sgprSrdB+0], s[sgprSrdB+0], s[sgprGlobalReadIncsB+0] // gra SRD += inc(lower)
s_addc_u32  s[sgprSrdB+1], s[sgprSrdB+1], 0        // gra SRD += inc(upper)
s_sub_u32 s[sgprShadowLimitB+0], s[sgprShadowLimitB+0], s[sgprGlobalReadIncsB+0] // limit -= inc)
v_mfma_f32_32x32x8_f16 a[48+0:63+0], v[vgprValuB_X0_I0+0+0+0:vgprValuB_X0_I0+0+0+0+1], v[vgprValuA_X0_I0+12+0+0:vgprValuA_X0_I0+12+0+0+1], a[48:63]
/*  mfmaIndex:4  */
_ds_load_b128 v[vgprValuA_X2_I0+8:vgprValuA_X2_I0+8+3], v[vgprLocalReadAddrA] offset:18464 // L -> Reg lro=16 swapByteOffset=0 ti=64 vIdx=2 rIdx=0 oIdx=0 buffer=2 iui=0
s_subb_u32 s[sgprShadowLimitB+1], s[sgprShadowLimitB+1], 0 // limit -= inc)
s_cmp_eq_u32 s[sgprShadowLimitB+1], 0              // are we within 2^32?
s_cmov_b32 s[sgprSrdB+2], s[sgprShadowLimitB+0]    // Move shadow to real if we are within 2^32
v_mfma_f32_32x32x8_f16 a[112+0:127+0], v[vgprValuB_X0_I0+4+0+0:vgprValuB_X0_I0+4+0+0+1], v[vgprValuA_X0_I0+12+0+0:vgprValuA_X0_I0+12+0+0+1], a[112:127]
/*  mfmaIndex:5  */
_ds_load_b128 v[vgprValuA_X2_I0+12:vgprValuA_X2_I0+12+3], v[vgprLocalReadAddrA] offset:27680 // L -> Reg lro=16 swapByteOffset=0 ti=64 vIdx=3 rIdx=0 oIdx=0 buffer=2 iui=0
v_mfma_f32_32x32x8_f16 a[96+0:111+0], v[vgprValuB_X0_I0+4+0+0:vgprValuB_X0_I0+4+0+0+1], v[vgprValuA_X0_I0+8+0+0:vgprValuA_X0_I0+8+0+0+1], a[96:111]
/*  mfmaIndex:6  */
_ds_load_b128 v[vgprValuB_X2_I0+4:vgprValuB_X2_I0+4+3], v[vgprLocalReadAddrB] offset:9248 // L -> Reg lro=16 swapByteOffset=0 ti=64 vIdx=1 rIdx=0 oIdx=0 buffer=2 iui=0
v_mfma_f32_32x32x8_f16 a[80+0:95+0], v[vgprValuB_X0_I0+4+0+0:vgprValuB_X0_I0+4+0+0+1], v[vgprValuA_X0_I0+4+0+0:vgprValuA_X0_I0+4+0+0+1], a[80:95]
/*  mfmaIndex:7  */
_ds_load_b128 v[vgprValuB_X2_I0+8:vgprValuB_X2_I0+8+3], v[vgprLocalReadAddrB] offset:18464 // L -> Reg lro=16 swapByteOffset=0 ti=64 vIdx=2 rIdx=0 oIdx=0 buffer=2 iui=0
/* localReadsVacancy: latencyLeft 2 */
v_mfma_f32_32x32x8_f16 a[64+0:79+0], v[vgprValuB_X0_I0+4+0+0:vgprValuB_X0_I0+4+0+0+1], v[vgprValuA_X0_I0+0+0+0:vgprValuA_X0_I0+0+0+0+1], a[64:79]
/*  mfmaIndex:8  */
/* localReadsVacancy: latencyLeft 6 */
_ds_load_b128 v[vgprValuA_X4_I0+0:vgprValuA_X4_I0+0+3], v[vgprLocalReadAddrA] offset:64 // L -> Reg lro=32 swapByteOffset=0 ti=64 vIdx=0 rIdx=0 oIdx=0 buffer=4 iui=0
v_mfma_f32_32x32x8_f16 a[128+0:143+0], v[vgprValuB_X0_I0+8+0+0:vgprValuB_X0_I0+8+0+0+1], v[vgprValuA_X0_I0+0+0+0:vgprValuA_X0_I0+0+0+0+1], a[128:143]
/*  mfmaIndex:9  */
/* localReadsVacancy: latencyLeft 6 */
_ds_load_b128 v[vgprValuB_X4_I0+0:vgprValuB_X4_I0+0+3], v[vgprLocalReadAddrB] offset:64 // L -> Reg lro=32 swapByteOffset=0 ti=64 vIdx=0 rIdx=0 oIdx=0 buffer=4 iui=0
v_mfma_f32_32x32x8_f16 a[144+0:159+0], v[vgprValuB_X0_I0+8+0+0:vgprValuB_X0_I0+8+0+0+1], v[vgprValuA_X0_I0+4+0+0:vgprValuA_X0_I0+4+0+0+1], a[144:159]
/*  mfmaIndex:10  */
/* localReadsVacancy: latencyLeft 6 */
_ds_load_b128 v[vgprValuA_X4_I0+4:vgprValuA_X4_I0+4+3], v[vgprLocalReadAddrA] offset:9280 // L -> Reg lro=32 swapByteOffset=0 ti=64 vIdx=1 rIdx=0 oIdx=0 buffer=4 iui=0
v_mfma_f32_32x32x8_f16 a[160+0:175+0], v[vgprValuB_X0_I0+8+0+0:vgprValuB_X0_I0+8+0+0+1], v[vgprValuA_X0_I0+8+0+0:vgprValuA_X0_I0+8+0+0+1], a[160:175]
/*  mfmaIndex:11  */
/* localReadsVacancy: latencyLeft 6 */
_ds_load_b128 v[vgprValuA_X4_I0+8:vgprValuA_X4_I0+8+3], v[vgprLocalReadAddrA] offset:18496 // L -> Reg lro=32 swapByteOffset=0 ti=64 vIdx=2 rIdx=0 oIdx=0 buffer=4 iui=0
v_mfma_f32_32x32x8_f16 a[176+0:191+0], v[vgprValuB_X0_I0+8+0+0:vgprValuB_X0_I0+8+0+0+1], v[vgprValuA_X0_I0+12+0+0:vgprValuA_X0_I0+12+0+0+1], a[176:191]
/* numPrefetchIter=0 */
/* dataAtIterA=-1 numReadsIterA=1 skipReadsIterA=1 readsPerIterA=4 */
/* dataAtIterB=-1 numReadsIterB=1 skipReadsIterB=1 readsPerIterB=3 */


/* iter 1 */

/*  grEndMfmaIndex:4, lwStartMfmaIndex:28, lwEndMfmaIndex:83  */
/*  numMfmaForLR:11, barrierMfmaIndex:84, LocalWritePerMfma:0.240 */
/*  mfmaIndex:12  */
_ds_load_b128 v[vgprValuA_X4_I0+12:vgprValuA_X4_I0+12+3], v[vgprLocalReadAddrA] offset:27712 // L -> Reg lro=32 swapByteOffset=0 ti=64 vIdx=3 rIdx=0 oIdx=0 buffer=4 iui=0
s_waitcnt lgkmcnt(12)                              // lgkmcnt=0 vmcnt=-1wait for prior local read local write old=4, new=12 newLW=0 newLR=8
v_mfma_f32_32x32x8_f16 a[0+0:15+0], v[vgprValuB_X0_I0+0+2+0:vgprValuB_X0_I0+0+2+0+1], v[vgprValuA_X0_I0+0+2+0:vgprValuA_X0_I0+0+2+0+1], a[0:15]
/*  mfmaIndex:13  */
_ds_load_b128 v[vgprValuB_X4_I0+4:vgprValuB_X4_I0+4+3], v[vgprLocalReadAddrB] offset:9280 // L -> Reg lro=32 swapByteOffset=0 ti=64 vIdx=1 rIdx=0 oIdx=0 buffer=4 iui=0
v_mfma_f32_32x32x8_f16 a[16+0:31+0], v[vgprValuB_X0_I0+0+2+0:vgprValuB_X0_I0+0+2+0+1], v[vgprValuA_X0_I0+4+2+0:vgprValuA_X0_I0+4+2+0+1], a[16:31]
/*  mfmaIndex:14  */
_ds_load_b128 v[vgprValuB_X4_I0+8:vgprValuB_X4_I0+8+3], v[vgprLocalReadAddrB] offset:18496 // L -> Reg lro=32 swapByteOffset=0 ti=64 vIdx=2 rIdx=0 oIdx=0 buffer=4 iui=0
/* localReadsVacancy: latencyLeft 2 */
v_mfma_f32_32x32x8_f16 a[32+0:47+0], v[vgprValuB_X0_I0+0+2+0:vgprValuB_X0_I0+0+2+0+1], v[vgprValuA_X0_I0+8+2+0:vgprValuA_X0_I0+8+2+0+1], a[32:47]
/*  mfmaIndex:15  */
/* localReadsVacancy: latencyLeft 6 */
_ds_load_b128 v[vgprValuA_X6_I0+0:vgprValuA_X6_I0+0+3], v[vgprLocalReadAddrA] offset:96 // L -> Reg lro=48 swapByteOffset=0 ti=64 vIdx=0 rIdx=0 oIdx=0 buffer=6 iui=0
v_mfma_f32_32x32x8_f16 a[48+0:63+0], v[vgprValuB_X0_I0+0+2+0:vgprValuB_X0_I0+0+2+0+1], v[vgprValuA_X0_I0+12+2+0:vgprValuA_X0_I0+12+2+0+1], a[48:63]
/*  mfmaIndex:16  */
/* localReadsVacancy: latencyLeft 6 */
_ds_load_b128 v[vgprValuB_X6_I0+0:vgprValuB_X6_I0+0+3], v[vgprLocalReadAddrB] offset:96 // L -> Reg lro=48 swapByteOffset=0 ti=64 vIdx=0 rIdx=0 oIdx=0 buffer=6 iui=0
v_mfma_f32_32x32x8_f16 a[112+0:127+0], v[vgprValuB_X0_I0+4+2+0:vgprValuB_X0_I0+4+2+0+1], v[vgprValuA_X0_I0+12+2+0:vgprValuA_X0_I0+12+2+0+1], a[112:127]
/*  mfmaIndex:17  */
/* localReadsVacancy: latencyLeft 6 */
_ds_load_b128 v[vgprValuA_X6_I0+4:vgprValuA_X6_I0+4+3], v[vgprLocalReadAddrA] offset:9312 // L -> Reg lro=48 swapByteOffset=0 ti=64 vIdx=1 rIdx=0 oIdx=0 buffer=6 iui=0
v_mfma_f32_32x32x8_f16 a[96+0:111+0], v[vgprValuB_X0_I0+4+2+0:vgprValuB_X0_I0+4+2+0+1], v[vgprValuA_X0_I0+8+2+0:vgprValuA_X0_I0+8+2+0+1], a[96:111]
/*  mfmaIndex:18  */
/* localReadsVacancy: latencyLeft 6 */
_ds_load_b128 v[vgprValuA_X6_I0+8:vgprValuA_X6_I0+8+3], v[vgprLocalReadAddrA] offset:18528 // L -> Reg lro=48 swapByteOffset=0 ti=64 vIdx=2 rIdx=0 oIdx=0 buffer=6 iui=0
	;; [unrolled: 4-line block ×3, first 2 shown]
v_mfma_f32_32x32x8_f16 a[64+0:79+0], v[vgprValuB_X0_I0+4+2+0:vgprValuB_X0_I0+4+2+0+1], v[vgprValuA_X0_I0+0+2+0:vgprValuA_X0_I0+0+2+0+1], a[64:79]
/*  mfmaIndex:20  */
/* localReadsVacancy: latencyLeft 6 */
_ds_load_b128 v[vgprValuB_X6_I0+4:vgprValuB_X6_I0+4+3], v[vgprLocalReadAddrB] offset:9312 // L -> Reg lro=48 swapByteOffset=0 ti=64 vIdx=1 rIdx=0 oIdx=0 buffer=6 iui=0
v_mfma_f32_32x32x8_f16 a[128+0:143+0], v[vgprValuB_X0_I0+8+2+0:vgprValuB_X0_I0+8+2+0+1], v[vgprValuA_X0_I0+0+2+0:vgprValuA_X0_I0+0+2+0+1], a[128:143]
/*  mfmaIndex:21  */
/* localReadsVacancy: latencyLeft 6 */
_ds_load_b128 v[vgprValuB_X6_I0+8:vgprValuB_X6_I0+8+3], v[vgprLocalReadAddrB] offset:18528 // L -> Reg lro=48 swapByteOffset=0 ti=64 vIdx=2 rIdx=0 oIdx=0 buffer=6 iui=0
v_mfma_f32_32x32x8_f16 a[144+0:159+0], v[vgprValuB_X0_I0+8+2+0:vgprValuB_X0_I0+8+2+0+1], v[vgprValuA_X0_I0+4+2+0:vgprValuA_X0_I0+4+2+0+1], a[144:159]
/*  mfmaIndex:22  */
/* localReadsVacancy: latencyLeft 6 */
v_mfma_f32_32x32x8_f16 a[160+0:175+0], v[vgprValuB_X0_I0+8+2+0:vgprValuB_X0_I0+8+2+0+1], v[vgprValuA_X0_I0+8+2+0:vgprValuA_X0_I0+8+2+0+1], a[160:175]
/*  mfmaIndex:23  */
/* localReadsVacancy: latencyLeft 6 */
v_mfma_f32_32x32x8_f16 a[176+0:191+0], v[vgprValuB_X0_I0+8+2+0:vgprValuB_X0_I0+8+2+0+1], v[vgprValuA_X0_I0+12+2+0:vgprValuA_X0_I0+12+2+0+1], a[176:191]
/* numPrefetchIter=0 */
/* dataAtIterA=-1 numReadsIterA=2 skipReadsIterA=2 readsPerIterA=4 */
/* dataAtIterB=-1 numReadsIterB=2 skipReadsIterB=2 readsPerIterB=3 */


/* iter 2 */

/*  grEndMfmaIndex:4, lwStartMfmaIndex:28, lwEndMfmaIndex:83  */
/*  numMfmaForLR:11, barrierMfmaIndex:84, LocalWritePerMfma:0.240 */
/*  mfmaIndex:24  */
/* localReadsVacancy: latencyLeft 6 */
s_waitcnt lgkmcnt(14)                              // lgkmcnt=0 vmcnt=-1wait for prior local read local write old=7, new=14 newLW=0 newLR=7
v_mfma_f32_32x32x8_f16 a[0+0:15+0], v[vgprValuB_X2_I0+0+0+0:vgprValuB_X2_I0+0+0+0+1], v[vgprValuA_X2_I0+0+0+0:vgprValuA_X2_I0+0+0+0+1], a[0:15]
/*  mfmaIndex:25  */
/* localReadsVacancy: latencyLeft 6 */
v_mfma_f32_32x32x8_f16 a[16+0:31+0], v[vgprValuB_X2_I0+0+0+0:vgprValuB_X2_I0+0+0+0+1], v[vgprValuA_X2_I0+4+0+0:vgprValuA_X2_I0+4+0+0+1], a[16:31]
/*  mfmaIndex:26  */
/* localReadsVacancy: latencyLeft 6 */
v_mfma_f32_32x32x8_f16 a[32+0:47+0], v[vgprValuB_X2_I0+0+0+0:vgprValuB_X2_I0+0+0+0+1], v[vgprValuA_X2_I0+8+0+0:vgprValuA_X2_I0+8+0+0+1], a[32:47]
/*  mfmaIndex:27  */
/* localReadsVacancy: latencyLeft 6 */
/* 1 LDS buffer: read-sync-write */
s_waitcnt lgkmcnt(0)                               // 
s_barrier                                          // 
v_mfma_f32_32x32x8_f16 a[48+0:63+0], v[vgprValuB_X2_I0+0+0+0:vgprValuB_X2_I0+0+0+0+1], v[vgprValuA_X2_I0+12+0+0:vgprValuA_X2_I0+12+0+0+1], a[48:63]
/*  mfmaIndex:28  */
/* sched write - iter 2 writesPerItem=1 */
s_waitcnt vmcnt(0)                                 // lgkmcnt=-1 vmcnt=0wait for global read before writing to local
_ds_store_b128 v[vgprLocalWriteAddrA], v[vgprG2LA+0:vgprG2LA+0+3] offset:0 // lwoA_0_0_0_0 = (0*LSCA)*(MT0I+PAD) + (0*LSPA) = 0
v_mfma_f32_32x32x8_f16 a[112+0:127+0], v[vgprValuB_X2_I0+4+0+0:vgprValuB_X2_I0+4+0+0+1], v[vgprValuA_X2_I0+12+0+0:vgprValuA_X2_I0+12+0+0+1], a[112:127]
/*  mfmaIndex:29  */
v_mfma_f32_32x32x8_f16 a[96+0:111+0], v[vgprValuB_X2_I0+4+0+0:vgprValuB_X2_I0+4+0+0+1], v[vgprValuA_X2_I0+8+0+0:vgprValuA_X2_I0+8+0+0+1], a[96:111]
/*  mfmaIndex:30  */
	;; [unrolled: 2-line block ×4, first 2 shown]
/* sched write - iter 2 writesPerItem=1 */
s_waitcnt vmcnt(0)                                 // lgkmcnt=-1 vmcnt=0wait for global read before writing to local
_ds_store_b128 v[vgprLocalWriteAddrA], v[vgprG2LA+4:vgprG2LA+4+3] offset:4608 // lwoA_0_0_1_0 = (0*LSCA)*(MT0I+PAD) + (1*LSPA) = 4608
v_mfma_f32_32x32x8_f16 a[128+0:143+0], v[vgprValuB_X2_I0+8+0+0:vgprValuB_X2_I0+8+0+0+1], v[vgprValuA_X2_I0+0+0+0:vgprValuA_X2_I0+0+0+0+1], a[128:143]
/*  mfmaIndex:33  */
v_mfma_f32_32x32x8_f16 a[144+0:159+0], v[vgprValuB_X2_I0+8+0+0:vgprValuB_X2_I0+8+0+0+1], v[vgprValuA_X2_I0+4+0+0:vgprValuA_X2_I0+4+0+0+1], a[144:159]
/*  mfmaIndex:34  */
	;; [unrolled: 2-line block ×3, first 2 shown]
v_mfma_f32_32x32x8_f16 a[176+0:191+0], v[vgprValuB_X2_I0+8+0+0:vgprValuB_X2_I0+8+0+0+1], v[vgprValuA_X2_I0+12+0+0:vgprValuA_X2_I0+12+0+0+1], a[176:191]
/* numPrefetchIter=0 */
/* dataAtIterA=0 numReadsIterA=3 skipReadsIterA=2 readsPerIterA=4 */
/* dataAtIterB=0 numReadsIterB=3 skipReadsIterB=2 readsPerIterB=3 */


/* iter 3 */

/*  grEndMfmaIndex:4, lwStartMfmaIndex:28, lwEndMfmaIndex:83  */
/*  numMfmaForLR:11, barrierMfmaIndex:84, LocalWritePerMfma:0.240 */
/*  mfmaIndex:36  */
/* sched write - iter 3 writesPerItem=1 */
s_waitcnt vmcnt(0)                                 // lgkmcnt=-1 vmcnt=0wait for global read before writing to local
_ds_store_b128 v[vgprLocalWriteAddrA], v[vgprG2LA+8:vgprG2LA+8+3] offset:9216 // lwoA_0_0_2_0 = (0*LSCA)*(MT0I+PAD) + (2*LSPA) = 9216
v_mfma_f32_32x32x8_f16 a[0+0:15+0], v[vgprValuB_X2_I0+0+2+0:vgprValuB_X2_I0+0+2+0+1], v[vgprValuA_X2_I0+0+2+0:vgprValuA_X2_I0+0+2+0+1], a[0:15]
/*  mfmaIndex:37  */
v_mfma_f32_32x32x8_f16 a[16+0:31+0], v[vgprValuB_X2_I0+0+2+0:vgprValuB_X2_I0+0+2+0+1], v[vgprValuA_X2_I0+4+2+0:vgprValuA_X2_I0+4+2+0+1], a[16:31]
/*  mfmaIndex:38  */
	;; [unrolled: 2-line block ×4, first 2 shown]
/* sched write - iter 3 writesPerItem=1 */
s_waitcnt vmcnt(0)                                 // lgkmcnt=-1 vmcnt=0wait for global read before writing to local
_ds_store_b128 v[vgprLocalWriteAddrA], v[vgprG2LA+12:vgprG2LA+12+3] offset:13824 // lwoA_0_0_3_0 = (0*LSCA)*(MT0I+PAD) + (3*LSPA) = 13824
v_mfma_f32_32x32x8_f16 a[112+0:127+0], v[vgprValuB_X2_I0+4+2+0:vgprValuB_X2_I0+4+2+0+1], v[vgprValuA_X2_I0+12+2+0:vgprValuA_X2_I0+12+2+0+1], a[112:127]
/*  mfmaIndex:41  */
v_mfma_f32_32x32x8_f16 a[96+0:111+0], v[vgprValuB_X2_I0+4+2+0:vgprValuB_X2_I0+4+2+0+1], v[vgprValuA_X2_I0+8+2+0:vgprValuA_X2_I0+8+2+0+1], a[96:111]
/*  mfmaIndex:42  */
	;; [unrolled: 2-line block ×4, first 2 shown]
/* sched write - iter 3 writesPerItem=1 */
s_waitcnt vmcnt(0)                                 // lgkmcnt=-1 vmcnt=0wait for global read before writing to local
_ds_store_b128 v[vgprLocalWriteAddrA], v[vgprG2LA+16:vgprG2LA+16+3] offset:18432 // lwoA_0_0_4_0 = (0*LSCA)*(MT0I+PAD) + (4*LSPA) = 18432
v_mfma_f32_32x32x8_f16 a[128+0:143+0], v[vgprValuB_X2_I0+8+2+0:vgprValuB_X2_I0+8+2+0+1], v[vgprValuA_X2_I0+0+2+0:vgprValuA_X2_I0+0+2+0+1], a[128:143]
/*  mfmaIndex:45  */
v_mfma_f32_32x32x8_f16 a[144+0:159+0], v[vgprValuB_X2_I0+8+2+0:vgprValuB_X2_I0+8+2+0+1], v[vgprValuA_X2_I0+4+2+0:vgprValuA_X2_I0+4+2+0+1], a[144:159]
/*  mfmaIndex:46  */
	;; [unrolled: 2-line block ×3, first 2 shown]
v_mfma_f32_32x32x8_f16 a[176+0:191+0], v[vgprValuB_X2_I0+8+2+0:vgprValuB_X2_I0+8+2+0+1], v[vgprValuA_X2_I0+12+2+0:vgprValuA_X2_I0+12+2+0+1], a[176:191]


/* iter 4 */

/*  grEndMfmaIndex:4, lwStartMfmaIndex:28, lwEndMfmaIndex:83  */
/*  numMfmaForLR:11, barrierMfmaIndex:84, LocalWritePerMfma:0.240 */
/*  mfmaIndex:48  */
/* sched write - iter 4 writesPerItem=1 */
s_waitcnt vmcnt(0)                                 // lgkmcnt=-1 vmcnt=0wait for global read before writing to local
_ds_store_b128 v[vgprLocalWriteAddrA], v[vgprG2LA+20:vgprG2LA+20+3] offset:23040 // lwoA_0_0_5_0 = (0*LSCA)*(MT0I+PAD) + (5*LSPA) = 23040
v_mfma_f32_32x32x8_f16 a[0+0:15+0], v[vgprValuB_X4_I0+0+0+0:vgprValuB_X4_I0+0+0+0+1], v[vgprValuA_X4_I0+0+0+0:vgprValuA_X4_I0+0+0+0+1], a[0:15]
/*  mfmaIndex:49  */
v_mfma_f32_32x32x8_f16 a[16+0:31+0], v[vgprValuB_X4_I0+0+0+0:vgprValuB_X4_I0+0+0+0+1], v[vgprValuA_X4_I0+4+0+0:vgprValuA_X4_I0+4+0+0+1], a[16:31]
/*  mfmaIndex:50  */
	;; [unrolled: 2-line block ×5, first 2 shown]
/* sched write - iter 4 writesPerItem=1 */
s_waitcnt vmcnt(0)                                 // lgkmcnt=-1 vmcnt=0wait for global read before writing to local
_ds_store_b128 v[vgprLocalWriteAddrA], v[vgprG2LA+24:vgprG2LA+24+3] offset:27648 // lwoA_0_0_6_0 = (0*LSCA)*(MT0I+PAD) + (6*LSPA) = 27648
v_mfma_f32_32x32x8_f16 a[96+0:111+0], v[vgprValuB_X4_I0+4+0+0:vgprValuB_X4_I0+4+0+0+1], v[vgprValuA_X4_I0+8+0+0:vgprValuA_X4_I0+8+0+0+1], a[96:111]
/*  mfmaIndex:54  */
v_mfma_f32_32x32x8_f16 a[80+0:95+0], v[vgprValuB_X4_I0+4+0+0:vgprValuB_X4_I0+4+0+0+1], v[vgprValuA_X4_I0+4+0+0:vgprValuA_X4_I0+4+0+0+1], a[80:95]
/*  mfmaIndex:55  */
	;; [unrolled: 2-line block ×4, first 2 shown]
/* sched write - iter 4 writesPerItem=1 */
s_waitcnt vmcnt(0)                                 // lgkmcnt=-1 vmcnt=0wait for global read before writing to local
_ds_store_b128 v[vgprLocalWriteAddrA], v[vgprG2LA+28:vgprG2LA+28+3] offset:32256 // lwoA_0_0_7_0 = (0*LSCA)*(MT0I+PAD) + (7*LSPA) = 32256
v_mfma_f32_32x32x8_f16 a[144+0:159+0], v[vgprValuB_X4_I0+8+0+0:vgprValuB_X4_I0+8+0+0+1], v[vgprValuA_X4_I0+4+0+0:vgprValuA_X4_I0+4+0+0+1], a[144:159]
/*  mfmaIndex:58  */
v_mfma_f32_32x32x8_f16 a[160+0:175+0], v[vgprValuB_X4_I0+8+0+0:vgprValuB_X4_I0+8+0+0+1], v[vgprValuA_X4_I0+8+0+0:vgprValuA_X4_I0+8+0+0+1], a[160:175]
/*  mfmaIndex:59  */
v_mfma_f32_32x32x8_f16 a[176+0:191+0], v[vgprValuB_X4_I0+8+0+0:vgprValuB_X4_I0+8+0+0+1], v[vgprValuA_X4_I0+12+0+0:vgprValuA_X4_I0+12+0+0+1], a[176:191]


/* iter 5 */

/*  grEndMfmaIndex:4, lwStartMfmaIndex:28, lwEndMfmaIndex:83  */
/*  numMfmaForLR:11, barrierMfmaIndex:84, LocalWritePerMfma:0.240 */
/*  mfmaIndex:60  */
v_mfma_f32_32x32x8_f16 a[0+0:15+0], v[vgprValuB_X4_I0+0+2+0:vgprValuB_X4_I0+0+2+0+1], v[vgprValuA_X4_I0+0+2+0:vgprValuA_X4_I0+0+2+0+1], a[0:15]
/*  mfmaIndex:61  */
/* sched write - iter 5 writesPerItem=1 */
s_waitcnt vmcnt(0)                                 // lgkmcnt=-1 vmcnt=0wait for global read before writing to local
_ds_store_b128 v[vgprLocalWriteAddrB], v[vgprG2LB+0:vgprG2LB+0+3] offset:0 // lwoB_0_0_0_0 = (0*LSCB)*(MT1J+PAD) + (0*LSPB) = 0
v_mfma_f32_32x32x8_f16 a[16+0:31+0], v[vgprValuB_X4_I0+0+2+0:vgprValuB_X4_I0+0+2+0+1], v[vgprValuA_X4_I0+4+2+0:vgprValuA_X4_I0+4+2+0+1], a[16:31]
/*  mfmaIndex:62  */
v_mfma_f32_32x32x8_f16 a[32+0:47+0], v[vgprValuB_X4_I0+0+2+0:vgprValuB_X4_I0+0+2+0+1], v[vgprValuA_X4_I0+8+2+0:vgprValuA_X4_I0+8+2+0+1], a[32:47]
/*  mfmaIndex:63  */
	;; [unrolled: 2-line block ×4, first 2 shown]
/* sched write - iter 5 writesPerItem=1 */
s_waitcnt vmcnt(0)                                 // lgkmcnt=-1 vmcnt=0wait for global read before writing to local
_ds_store_b128 v[vgprLocalWriteAddrB], v[vgprG2LB+4:vgprG2LB+4+3] offset:4608 // lwoB_0_0_1_0 = (0*LSCB)*(MT1J+PAD) + (1*LSPB) = 4608
v_mfma_f32_32x32x8_f16 a[96+0:111+0], v[vgprValuB_X4_I0+4+2+0:vgprValuB_X4_I0+4+2+0+1], v[vgprValuA_X4_I0+8+2+0:vgprValuA_X4_I0+8+2+0+1], a[96:111]
/*  mfmaIndex:66  */
v_mfma_f32_32x32x8_f16 a[80+0:95+0], v[vgprValuB_X4_I0+4+2+0:vgprValuB_X4_I0+4+2+0+1], v[vgprValuA_X4_I0+4+2+0:vgprValuA_X4_I0+4+2+0+1], a[80:95]
/*  mfmaIndex:67  */
	;; [unrolled: 2-line block ×4, first 2 shown]
/* sched write - iter 5 writesPerItem=1 */
s_waitcnt vmcnt(0)                                 // lgkmcnt=-1 vmcnt=0wait for global read before writing to local
_ds_store_b128 v[vgprLocalWriteAddrB], v[vgprG2LB+8:vgprG2LB+8+3] offset:9216 // lwoB_0_0_2_0 = (0*LSCB)*(MT1J+PAD) + (2*LSPB) = 9216
v_mfma_f32_32x32x8_f16 a[144+0:159+0], v[vgprValuB_X4_I0+8+2+0:vgprValuB_X4_I0+8+2+0+1], v[vgprValuA_X4_I0+4+2+0:vgprValuA_X4_I0+4+2+0+1], a[144:159]
/*  mfmaIndex:70  */
v_mfma_f32_32x32x8_f16 a[160+0:175+0], v[vgprValuB_X4_I0+8+2+0:vgprValuB_X4_I0+8+2+0+1], v[vgprValuA_X4_I0+8+2+0:vgprValuA_X4_I0+8+2+0+1], a[160:175]
/*  mfmaIndex:71  */
v_mfma_f32_32x32x8_f16 a[176+0:191+0], v[vgprValuB_X4_I0+8+2+0:vgprValuB_X4_I0+8+2+0+1], v[vgprValuA_X4_I0+12+2+0:vgprValuA_X4_I0+12+2+0+1], a[176:191]


/* iter 6 (reset local read pointers iteration)  (swap and reset local write pointers iteration)  (swap local read pointers iteration)  */

/*  grEndMfmaIndex:4, lwStartMfmaIndex:28, lwEndMfmaIndex:83  */
/*  numMfmaForLR:11, barrierMfmaIndex:84, LocalWritePerMfma:0.240 */
/*  mfmaIndex:72  */
v_mfma_f32_32x32x8_f16 a[0+0:15+0], v[vgprValuB_X6_I0+0+0+0:vgprValuB_X6_I0+0+0+0+1], v[vgprValuA_X6_I0+0+0+0:vgprValuA_X6_I0+0+0+0+1], a[0:15]
/*  mfmaIndex:73  */
/* sched write - iter 6 writesPerItem=1 */
s_waitcnt vmcnt(0)                                 // lgkmcnt=-1 vmcnt=0wait for global read before writing to local
_ds_store_b128 v[vgprLocalWriteAddrB], v[vgprG2LB+12:vgprG2LB+12+3] offset:13824 // lwoB_0_0_3_0 = (0*LSCB)*(MT1J+PAD) + (3*LSPB) = 13824
v_mfma_f32_32x32x8_f16 a[16+0:31+0], v[vgprValuB_X6_I0+0+0+0:vgprValuB_X6_I0+0+0+0+1], v[vgprValuA_X6_I0+4+0+0:vgprValuA_X6_I0+4+0+0+1], a[16:31]
/*  mfmaIndex:74  */
v_mfma_f32_32x32x8_f16 a[32+0:47+0], v[vgprValuB_X6_I0+0+0+0:vgprValuB_X6_I0+0+0+0+1], v[vgprValuA_X6_I0+8+0+0:vgprValuA_X6_I0+8+0+0+1], a[32:47]
/*  mfmaIndex:75  */
	;; [unrolled: 2-line block ×5, first 2 shown]
/* sched write - iter 6 writesPerItem=1 */
s_waitcnt vmcnt(0)                                 // lgkmcnt=-1 vmcnt=0wait for global read before writing to local
_ds_store_b128 v[vgprLocalWriteAddrB], v[vgprG2LB+16:vgprG2LB+16+3] offset:18432 // lwoB_0_0_4_0 = (0*LSCB)*(MT1J+PAD) + (4*LSPB) = 18432
v_mfma_f32_32x32x8_f16 a[80+0:95+0], v[vgprValuB_X6_I0+4+0+0:vgprValuB_X6_I0+4+0+0+1], v[vgprValuA_X6_I0+4+0+0:vgprValuA_X6_I0+4+0+0+1], a[80:95]
/*  mfmaIndex:79  */
v_mfma_f32_32x32x8_f16 a[64+0:79+0], v[vgprValuB_X6_I0+4+0+0:vgprValuB_X6_I0+4+0+0+1], v[vgprValuA_X6_I0+0+0+0:vgprValuA_X6_I0+0+0+0+1], a[64:79]
/*  mfmaIndex:80  */
	;; [unrolled: 2-line block ×4, first 2 shown]
/* sched write - iter 6 writesPerItem=1 */
s_waitcnt vmcnt(0)                                 // lgkmcnt=-1 vmcnt=0wait for global read before writing to local
_ds_store_b128 v[vgprLocalWriteAddrB], v[vgprG2LB+20:vgprG2LB+20+3] offset:23040 // lwoB_0_0_5_0 = (0*LSCB)*(MT1J+PAD) + (5*LSPB) = 23040
v_mfma_f32_32x32x8_f16 a[160+0:175+0], v[vgprValuB_X6_I0+8+0+0:vgprValuB_X6_I0+8+0+0+1], v[vgprValuA_X6_I0+8+0+0:vgprValuA_X6_I0+8+0+0+1], a[160:175]
/*  mfmaIndex:83  */

/* local write swap offsets a */

/* local write swap offsets b */

/* local read swap offsets a */

/* local read swap offsets b */

/* local read init pointers a */

/* localReadInitPointers */

/* local read init pointers b */

/* localReadInitPointers */
v_mfma_f32_32x32x8_f16 a[176+0:191+0], v[vgprValuB_X6_I0+8+0+0:vgprValuB_X6_I0+8+0+0+1], v[vgprValuA_X6_I0+12+0+0:vgprValuA_X6_I0+12+0+0+1], a[176:191]


/* iter 7 */

/*  grEndMfmaIndex:4, lwStartMfmaIndex:28, lwEndMfmaIndex:83  */
/*  numMfmaForLR:11, barrierMfmaIndex:84, LocalWritePerMfma:0.240 */
/*  mfmaIndex:84  */
s_waitcnt lgkmcnt(0)                               // lgkmcnt=0 vmcnt=-13wait for local write
// Skip force waitcnt0
s_barrier //
v_mfma_f32_32x32x8_f16 a[0+0:15+0], v[vgprValuB_X6_I0+0+2+0:vgprValuB_X6_I0+0+2+0+1], v[vgprValuA_X6_I0+0+2+0:vgprValuA_X6_I0+0+2+0+1], a[0:15]
/*  mfmaIndex:85  */
_ds_load_b128 v[vgprValuA_X0_I0+0:vgprValuA_X0_I0+0+3], v[vgprLocalReadAddrA] offset:0 // L -> Reg lro=0 swapByteOffset=0 ti=64 vIdx=0 rIdx=0 oIdx=0 buffer=0 iui=0
v_mfma_f32_32x32x8_f16 a[16+0:31+0], v[vgprValuB_X6_I0+0+2+0:vgprValuB_X6_I0+0+2+0+1], v[vgprValuA_X6_I0+4+2+0:vgprValuA_X6_I0+4+2+0+1], a[16:31]
/*  mfmaIndex:86  */
_ds_load_b128 v[vgprValuB_X0_I0+0:vgprValuB_X0_I0+0+3], v[vgprLocalReadAddrB] offset:0 // L -> Reg lro=0 swapByteOffset=0 ti=64 vIdx=0 rIdx=0 oIdx=0 buffer=0 iui=0
v_mfma_f32_32x32x8_f16 a[32+0:47+0], v[vgprValuB_X6_I0+0+2+0:vgprValuB_X6_I0+0+2+0+1], v[vgprValuA_X6_I0+8+2+0:vgprValuA_X6_I0+8+2+0+1], a[32:47]
/*  mfmaIndex:87  */
_ds_load_b128 v[vgprValuA_X0_I0+4:vgprValuA_X0_I0+4+3], v[vgprLocalReadAddrA] offset:9216 // L -> Reg lro=0 swapByteOffset=0 ti=64 vIdx=1 rIdx=0 oIdx=0 buffer=0 iui=0
v_mfma_f32_32x32x8_f16 a[48+0:63+0], v[vgprValuB_X6_I0+0+2+0:vgprValuB_X6_I0+0+2+0+1], v[vgprValuA_X6_I0+12+2+0:vgprValuA_X6_I0+12+2+0+1], a[48:63]
/*  mfmaIndex:88  */
_ds_load_b128 v[vgprValuA_X0_I0+8:vgprValuA_X0_I0+8+3], v[vgprLocalReadAddrA] offset:18432 // L -> Reg lro=0 swapByteOffset=0 ti=64 vIdx=2 rIdx=0 oIdx=0 buffer=0 iui=0
	;; [unrolled: 3-line block ×3, first 2 shown]
v_mfma_f32_32x32x8_f16 a[96+0:111+0], v[vgprValuB_X6_I0+4+2+0:vgprValuB_X6_I0+4+2+0+1], v[vgprValuA_X6_I0+8+2+0:vgprValuA_X6_I0+8+2+0+1], a[96:111]
/*  mfmaIndex:90  */
_ds_load_b128 v[vgprValuB_X0_I0+4:vgprValuB_X0_I0+4+3], v[vgprLocalReadAddrB] offset:9216 // L -> Reg lro=0 swapByteOffset=0 ti=64 vIdx=1 rIdx=0 oIdx=0 buffer=0 iui=0
v_mfma_f32_32x32x8_f16 a[80+0:95+0], v[vgprValuB_X6_I0+4+2+0:vgprValuB_X6_I0+4+2+0+1], v[vgprValuA_X6_I0+4+2+0:vgprValuA_X6_I0+4+2+0+1], a[80:95]
/*  mfmaIndex:91  */
_ds_load_b128 v[vgprValuB_X0_I0+8:vgprValuB_X0_I0+8+3], v[vgprLocalReadAddrB] offset:18432 // L -> Reg lro=0 swapByteOffset=0 ti=64 vIdx=2 rIdx=0 oIdx=0 buffer=0 iui=0
v_mfma_f32_32x32x8_f16 a[64+0:79+0], v[vgprValuB_X6_I0+4+2+0:vgprValuB_X6_I0+4+2+0+1], v[vgprValuA_X6_I0+0+2+0:vgprValuA_X6_I0+0+2+0+1], a[64:79]
/*  mfmaIndex:92  */
v_mfma_f32_32x32x8_f16 a[128+0:143+0], v[vgprValuB_X6_I0+8+2+0:vgprValuB_X6_I0+8+2+0+1], v[vgprValuA_X6_I0+0+2+0:vgprValuA_X6_I0+0+2+0+1], a[128:143]
/*  mfmaIndex:93  */
	;; [unrolled: 2-line block ×4, first 2 shown]
v_mfma_f32_32x32x8_f16 a[176+0:191+0], v[vgprValuB_X6_I0+8+2+0:vgprValuB_X6_I0+8+2+0+1], v[vgprValuA_X6_I0+12+2+0:vgprValuA_X6_I0+12+2+0+1], a[176:191]

label_0014:


/******************************************/
/* Opt. NoLoadLoop Without PAP - Begin                                      */
/******************************************/

s_cmpk_eq_u32 s[sgprBeta], 0x0                     // Beta == 0
s_cbranch_scc0 OptNLL_End_17                       // Branch if Beta is not zero

s_cmp_eq_u32 s[sgprAlpha], 1.0                     // Alpha == 1.0 ?
s_cbranch_scc0 OptNLL_End_17                       // branch if alpha != 1

s_and_b32 s66, 255, s[sgprSizeI]                   // s66 = s[sgprSizeI] % 256
s_add_u32 s67, -0x1, s[sgprNumWorkGroups0]         // 
s_cmp_ge_u32 s[sgprWorkGroup0], s67                // wg0 >= nwg0-1 ?
s_cselect_b32 s66, s66, 0                          // set rMT0
s_cmpk_gt_u32 s66, 0x0                             // rMT0 > 0
s_cbranch_scc1 OptNLL_End_17                       // jump if edges required
s_mov_b32 s69, 0x0                                 // STATIC_DIV: divisior=192
s_mul_i32 s68, 0x2aa, s[sgprSizeJ]                 // tmp1 = dividend * magic hi
s_lshl_b64 s[68:69], s[68:69], 0x10                // left shift 16 bits
s_mul_i32 s67, s[sgprSizeJ], 0xaaab                // tmp0 = dividend * magic lo
s_add_u32 s68, s67, s68                            // add lo
s_addc_u32 s69, s69, 0x0                           // add hi
s_lshr_b64 s[68:69], s[68:69], 0x21                // tmp1 = (dividend * magic) << shift
s_mov_b32 s67, s68                                 // quotient
s_mul_i32 s68, s67, 0xc0                           // quotient*divisor
s_sub_u32 s66, s[sgprSizeJ], s68                   // rReg = dividend - quotient*divisor
s_add_u32 s67, -0x1, s[sgprNumWorkGroups1]         // 
s_cmp_ge_u32 s[sgprWorkGroup1], s67                // wg1 >= nwg1-1
s_cselect_b32 s66, s66, 0                          // set rMT1
s_cmpk_gt_u32 s66, 0x0                             // rMT1 > 0
s_cbranch_scc1 OptNLL_End_17                       // jump if edges required


	;; [unrolled: 1-line block ×4, first 2 shown]
/* iter 0 (last unrolled loop) */

/*  grEndMfmaIndex:0, lwStartMfmaIndex:83, lwEndMfmaIndex:83  */
/*  numMfmaForLR:11, barrierMfmaIndex:84, LocalWritePerMfma:0.240 */
/*  mfmaIndex:0  */
s_waitcnt lgkmcnt(0)                               // lgkmcnt=0 vmcnt=-1wait for prior local read local write old=0, new=0 newLW=0 newLR=0
v_mfma_f32_32x32x8_f16 a[0+0:15+0], v[vgprValuB_X0_I0+0+0+0:vgprValuB_X0_I0+0+0+0+1], v[vgprValuA_X0_I0+0+0+0:vgprValuA_X0_I0+0+0+0+1], a[0:15]
/*  mfmaIndex:1  */
_ds_load_b128 v[vgprValuA_X2_I0+0:vgprValuA_X2_I0+0+3], v[vgprLocalReadAddrA] offset:32 // L -> Reg lro=16 swapByteOffset=0 ti=64 vIdx=0 rIdx=0 oIdx=0 buffer=2 iui=0
v_mfma_f32_32x32x8_f16 a[16+0:31+0], v[vgprValuB_X0_I0+0+0+0:vgprValuB_X0_I0+0+0+0+1], v[vgprValuA_X0_I0+4+0+0:vgprValuA_X0_I0+4+0+0+1], a[16:31]
/*  mfmaIndex:2  */
_ds_load_b128 v[vgprValuB_X2_I0+0:vgprValuB_X2_I0+0+3], v[vgprLocalReadAddrB] offset:32 // L -> Reg lro=16 swapByteOffset=0 ti=64 vIdx=0 rIdx=0 oIdx=0 buffer=2 iui=0
v_mfma_f32_32x32x8_f16 a[32+0:47+0], v[vgprValuB_X0_I0+0+0+0:vgprValuB_X0_I0+0+0+0+1], v[vgprValuA_X0_I0+8+0+0:vgprValuA_X0_I0+8+0+0+1], a[32:47]
/*  mfmaIndex:3  */
_ds_load_b128 v[vgprValuA_X2_I0+4:vgprValuA_X2_I0+4+3], v[vgprLocalReadAddrA] offset:9248 // L -> Reg lro=16 swapByteOffset=0 ti=64 vIdx=1 rIdx=0 oIdx=0 buffer=2 iui=0
v_mfma_f32_32x32x8_f16 a[48+0:63+0], v[vgprValuB_X0_I0+0+0+0:vgprValuB_X0_I0+0+0+0+1], v[vgprValuA_X0_I0+12+0+0:vgprValuA_X0_I0+12+0+0+1], a[48:63]
/*  mfmaIndex:4  */
_ds_load_b128 v[vgprValuA_X2_I0+8:vgprValuA_X2_I0+8+3], v[vgprLocalReadAddrA] offset:18464 // L -> Reg lro=16 swapByteOffset=0 ti=64 vIdx=2 rIdx=0 oIdx=0 buffer=2 iui=0
	;; [unrolled: 3-line block ×3, first 2 shown]
v_mfma_f32_32x32x8_f16 a[96+0:111+0], v[vgprValuB_X0_I0+4+0+0:vgprValuB_X0_I0+4+0+0+1], v[vgprValuA_X0_I0+8+0+0:vgprValuA_X0_I0+8+0+0+1], a[96:111]
/*  mfmaIndex:6  */
_ds_load_b128 v[vgprValuB_X2_I0+4:vgprValuB_X2_I0+4+3], v[vgprLocalReadAddrB] offset:9248 // L -> Reg lro=16 swapByteOffset=0 ti=64 vIdx=1 rIdx=0 oIdx=0 buffer=2 iui=0
v_mfma_f32_32x32x8_f16 a[80+0:95+0], v[vgprValuB_X0_I0+4+0+0:vgprValuB_X0_I0+4+0+0+1], v[vgprValuA_X0_I0+4+0+0:vgprValuA_X0_I0+4+0+0+1], a[80:95]
/*  mfmaIndex:7  */
_ds_load_b128 v[vgprValuB_X2_I0+8:vgprValuB_X2_I0+8+3], v[vgprLocalReadAddrB] offset:18464 // L -> Reg lro=16 swapByteOffset=0 ti=64 vIdx=2 rIdx=0 oIdx=0 buffer=2 iui=0
/* localReadsVacancy: latencyLeft 2 */
v_mfma_f32_32x32x8_f16 a[64+0:79+0], v[vgprValuB_X0_I0+4+0+0:vgprValuB_X0_I0+4+0+0+1], v[vgprValuA_X0_I0+0+0+0:vgprValuA_X0_I0+0+0+0+1], a[64:79]
/*  mfmaIndex:8  */
/* localReadsVacancy: latencyLeft 6 */
_ds_load_b128 v[vgprValuA_X4_I0+0:vgprValuA_X4_I0+0+3], v[vgprLocalReadAddrA] offset:64 // L -> Reg lro=32 swapByteOffset=0 ti=64 vIdx=0 rIdx=0 oIdx=0 buffer=4 iui=0
v_mfma_f32_32x32x8_f16 a[128+0:143+0], v[vgprValuB_X0_I0+8+0+0:vgprValuB_X0_I0+8+0+0+1], v[vgprValuA_X0_I0+0+0+0:vgprValuA_X0_I0+0+0+0+1], a[128:143]
/*  mfmaIndex:9  */
/* localReadsVacancy: latencyLeft 6 */
_ds_load_b128 v[vgprValuB_X4_I0+0:vgprValuB_X4_I0+0+3], v[vgprLocalReadAddrB] offset:64 // L -> Reg lro=32 swapByteOffset=0 ti=64 vIdx=0 rIdx=0 oIdx=0 buffer=4 iui=0
v_mfma_f32_32x32x8_f16 a[144+0:159+0], v[vgprValuB_X0_I0+8+0+0:vgprValuB_X0_I0+8+0+0+1], v[vgprValuA_X0_I0+4+0+0:vgprValuA_X0_I0+4+0+0+1], a[144:159]
/*  mfmaIndex:10  */
/* localReadsVacancy: latencyLeft 6 */
_ds_load_b128 v[vgprValuA_X4_I0+4:vgprValuA_X4_I0+4+3], v[vgprLocalReadAddrA] offset:9280 // L -> Reg lro=32 swapByteOffset=0 ti=64 vIdx=1 rIdx=0 oIdx=0 buffer=4 iui=0
v_mfma_f32_32x32x8_f16 a[160+0:175+0], v[vgprValuB_X0_I0+8+0+0:vgprValuB_X0_I0+8+0+0+1], v[vgprValuA_X0_I0+8+0+0:vgprValuA_X0_I0+8+0+0+1], a[160:175]
/*  mfmaIndex:11  */
/* localReadsVacancy: latencyLeft 6 */
_ds_load_b128 v[vgprValuA_X4_I0+8:vgprValuA_X4_I0+8+3], v[vgprLocalReadAddrA] offset:18496 // L -> Reg lro=32 swapByteOffset=0 ti=64 vIdx=2 rIdx=0 oIdx=0 buffer=4 iui=0
v_mfma_f32_32x32x8_f16 a[176+0:191+0], v[vgprValuB_X0_I0+8+0+0:vgprValuB_X0_I0+8+0+0+1], v[vgprValuA_X0_I0+12+0+0:vgprValuA_X0_I0+12+0+0+1], a[176:191]
/* numPrefetchIter=0 */
/* dataAtIterA=-1 numReadsIterA=1 skipReadsIterA=1 readsPerIterA=4 */
/* dataAtIterB=-1 numReadsIterB=1 skipReadsIterB=1 readsPerIterB=3 */


/* iter 1 (last unrolled loop) */

/*  grEndMfmaIndex:0, lwStartMfmaIndex:83, lwEndMfmaIndex:83  */
/*  numMfmaForLR:11, barrierMfmaIndex:84, LocalWritePerMfma:0.240 */
/*  mfmaIndex:12  */
_ds_load_b128 v[vgprValuA_X4_I0+12:vgprValuA_X4_I0+12+3], v[vgprLocalReadAddrA] offset:27712 // L -> Reg lro=32 swapByteOffset=0 ti=64 vIdx=3 rIdx=0 oIdx=0 buffer=4 iui=0
s_waitcnt lgkmcnt(12)                              // lgkmcnt=0 vmcnt=-1wait for prior local read local write old=4, new=12 newLW=0 newLR=8
v_mfma_f32_32x32x8_f16 a[0+0:15+0], v[vgprValuB_X0_I0+0+2+0:vgprValuB_X0_I0+0+2+0+1], v[vgprValuA_X0_I0+0+2+0:vgprValuA_X0_I0+0+2+0+1], a[0:15]
/*  mfmaIndex:13  */
_ds_load_b128 v[vgprValuB_X4_I0+4:vgprValuB_X4_I0+4+3], v[vgprLocalReadAddrB] offset:9280 // L -> Reg lro=32 swapByteOffset=0 ti=64 vIdx=1 rIdx=0 oIdx=0 buffer=4 iui=0
v_mfma_f32_32x32x8_f16 a[16+0:31+0], v[vgprValuB_X0_I0+0+2+0:vgprValuB_X0_I0+0+2+0+1], v[vgprValuA_X0_I0+4+2+0:vgprValuA_X0_I0+4+2+0+1], a[16:31]
/*  mfmaIndex:14  */
_ds_load_b128 v[vgprValuB_X4_I0+8:vgprValuB_X4_I0+8+3], v[vgprLocalReadAddrB] offset:18496 // L -> Reg lro=32 swapByteOffset=0 ti=64 vIdx=2 rIdx=0 oIdx=0 buffer=4 iui=0
/* localReadsVacancy: latencyLeft 2 */
v_mfma_f32_32x32x8_f16 a[32+0:47+0], v[vgprValuB_X0_I0+0+2+0:vgprValuB_X0_I0+0+2+0+1], v[vgprValuA_X0_I0+8+2+0:vgprValuA_X0_I0+8+2+0+1], a[32:47]
/*  mfmaIndex:15  */
/* localReadsVacancy: latencyLeft 6 */
_ds_load_b128 v[vgprValuA_X6_I0+0:vgprValuA_X6_I0+0+3], v[vgprLocalReadAddrA] offset:96 // L -> Reg lro=48 swapByteOffset=0 ti=64 vIdx=0 rIdx=0 oIdx=0 buffer=6 iui=0
v_mfma_f32_32x32x8_f16 a[48+0:63+0], v[vgprValuB_X0_I0+0+2+0:vgprValuB_X0_I0+0+2+0+1], v[vgprValuA_X0_I0+12+2+0:vgprValuA_X0_I0+12+2+0+1], a[48:63]
/*  mfmaIndex:16  */
/* localReadsVacancy: latencyLeft 6 */
_ds_load_b128 v[vgprValuB_X6_I0+0:vgprValuB_X6_I0+0+3], v[vgprLocalReadAddrB] offset:96 // L -> Reg lro=48 swapByteOffset=0 ti=64 vIdx=0 rIdx=0 oIdx=0 buffer=6 iui=0
v_mfma_f32_32x32x8_f16 a[112+0:127+0], v[vgprValuB_X0_I0+4+2+0:vgprValuB_X0_I0+4+2+0+1], v[vgprValuA_X0_I0+12+2+0:vgprValuA_X0_I0+12+2+0+1], a[112:127]
/*  mfmaIndex:17  */
/* localReadsVacancy: latencyLeft 6 */
_ds_load_b128 v[vgprValuA_X6_I0+4:vgprValuA_X6_I0+4+3], v[vgprLocalReadAddrA] offset:9312 // L -> Reg lro=48 swapByteOffset=0 ti=64 vIdx=1 rIdx=0 oIdx=0 buffer=6 iui=0
v_mfma_f32_32x32x8_f16 a[96+0:111+0], v[vgprValuB_X0_I0+4+2+0:vgprValuB_X0_I0+4+2+0+1], v[vgprValuA_X0_I0+8+2+0:vgprValuA_X0_I0+8+2+0+1], a[96:111]
/*  mfmaIndex:18  */
/* localReadsVacancy: latencyLeft 6 */
_ds_load_b128 v[vgprValuA_X6_I0+8:vgprValuA_X6_I0+8+3], v[vgprLocalReadAddrA] offset:18528 // L -> Reg lro=48 swapByteOffset=0 ti=64 vIdx=2 rIdx=0 oIdx=0 buffer=6 iui=0
	;; [unrolled: 4-line block ×3, first 2 shown]
v_mfma_f32_32x32x8_f16 a[64+0:79+0], v[vgprValuB_X0_I0+4+2+0:vgprValuB_X0_I0+4+2+0+1], v[vgprValuA_X0_I0+0+2+0:vgprValuA_X0_I0+0+2+0+1], a[64:79]
/*  mfmaIndex:20  */
/* localReadsVacancy: latencyLeft 6 */
_ds_load_b128 v[vgprValuB_X6_I0+4:vgprValuB_X6_I0+4+3], v[vgprLocalReadAddrB] offset:9312 // L -> Reg lro=48 swapByteOffset=0 ti=64 vIdx=1 rIdx=0 oIdx=0 buffer=6 iui=0
v_mfma_f32_32x32x8_f16 a[128+0:143+0], v[vgprValuB_X0_I0+8+2+0:vgprValuB_X0_I0+8+2+0+1], v[vgprValuA_X0_I0+0+2+0:vgprValuA_X0_I0+0+2+0+1], a[128:143]
/*  mfmaIndex:21  */
/* localReadsVacancy: latencyLeft 6 */
_ds_load_b128 v[vgprValuB_X6_I0+8:vgprValuB_X6_I0+8+3], v[vgprLocalReadAddrB] offset:18528 // L -> Reg lro=48 swapByteOffset=0 ti=64 vIdx=2 rIdx=0 oIdx=0 buffer=6 iui=0
v_mfma_f32_32x32x8_f16 a[144+0:159+0], v[vgprValuB_X0_I0+8+2+0:vgprValuB_X0_I0+8+2+0+1], v[vgprValuA_X0_I0+4+2+0:vgprValuA_X0_I0+4+2+0+1], a[144:159]
/*  mfmaIndex:22  */
/* localReadsVacancy: latencyLeft 6 */
v_mfma_f32_32x32x8_f16 a[160+0:175+0], v[vgprValuB_X0_I0+8+2+0:vgprValuB_X0_I0+8+2+0+1], v[vgprValuA_X0_I0+8+2+0:vgprValuA_X0_I0+8+2+0+1], a[160:175]
/*  mfmaIndex:23  */
/* localReadsVacancy: latencyLeft 6 */
v_mfma_f32_32x32x8_f16 a[176+0:191+0], v[vgprValuB_X0_I0+8+2+0:vgprValuB_X0_I0+8+2+0+1], v[vgprValuA_X0_I0+12+2+0:vgprValuA_X0_I0+12+2+0+1], a[176:191]
/* numPrefetchIter=0 */
/* dataAtIterA=-1 numReadsIterA=2 skipReadsIterA=2 readsPerIterA=4 */
/* dataAtIterB=-1 numReadsIterB=2 skipReadsIterB=2 readsPerIterB=3 */


/* iter 2 (last unrolled loop) */

/*  grEndMfmaIndex:0, lwStartMfmaIndex:83, lwEndMfmaIndex:83  */
/*  numMfmaForLR:11, barrierMfmaIndex:84, LocalWritePerMfma:0.240 */
/*  mfmaIndex:24  */
/* localReadsVacancy: latencyLeft 6 */
s_waitcnt lgkmcnt(14)                              // lgkmcnt=0 vmcnt=-1wait for prior local read local write old=7, new=14 newLW=0 newLR=7
v_mfma_f32_32x32x8_f16 a[0+0:15+0], v[vgprValuB_X2_I0+0+0+0:vgprValuB_X2_I0+0+0+0+1], v[vgprValuA_X2_I0+0+0+0:vgprValuA_X2_I0+0+0+0+1], a[0:15]
/*  mfmaIndex:25  */
/* localReadsVacancy: latencyLeft 6 */
v_mfma_f32_32x32x8_f16 a[16+0:31+0], v[vgprValuB_X2_I0+0+0+0:vgprValuB_X2_I0+0+0+0+1], v[vgprValuA_X2_I0+4+0+0:vgprValuA_X2_I0+4+0+0+1], a[16:31]
/*  mfmaIndex:26  */
/* localReadsVacancy: latencyLeft 6 */
	;; [unrolled: 3-line block ×11, first 2 shown]
v_mfma_f32_32x32x8_f16 a[176+0:191+0], v[vgprValuB_X2_I0+8+0+0:vgprValuB_X2_I0+8+0+0+1], v[vgprValuA_X2_I0+12+0+0:vgprValuA_X2_I0+12+0+0+1], a[176:191]
/* numPrefetchIter=0 */
/* dataAtIterA=0 numReadsIterA=3 skipReadsIterA=2 readsPerIterA=4 */
/* dataAtIterB=0 numReadsIterB=3 skipReadsIterB=2 readsPerIterB=3 */


/* iter 3 (last unrolled loop) */

/*  grEndMfmaIndex:0, lwStartMfmaIndex:83, lwEndMfmaIndex:83  */
/*  numMfmaForLR:11, barrierMfmaIndex:84, LocalWritePerMfma:0.240 */
/*  mfmaIndex:36  */
/* localReadsVacancy: latencyLeft 6 */
s_waitcnt lgkmcnt(14)                              // lgkmcnt=0 vmcnt=-1wait for prior local read local write old=0, new=14 newLW=0 newLR=14
v_mfma_f32_32x32x8_f16 a[0+0:15+0], v[vgprValuB_X2_I0+0+2+0:vgprValuB_X2_I0+0+2+0+1], v[vgprValuA_X2_I0+0+2+0:vgprValuA_X2_I0+0+2+0+1], a[0:15]
/*  mfmaIndex:37  */
/* localReadsVacancy: latencyLeft 6 */
v_mfma_f32_32x32x8_f16 a[16+0:31+0], v[vgprValuB_X2_I0+0+2+0:vgprValuB_X2_I0+0+2+0+1], v[vgprValuA_X2_I0+4+2+0:vgprValuA_X2_I0+4+2+0+1], a[16:31]
/*  mfmaIndex:38  */
/* localReadsVacancy: latencyLeft 6 */
	;; [unrolled: 3-line block ×11, first 2 shown]
v_mfma_f32_32x32x8_f16 a[176+0:191+0], v[vgprValuB_X2_I0+8+2+0:vgprValuB_X2_I0+8+2+0+1], v[vgprValuA_X2_I0+12+2+0:vgprValuA_X2_I0+12+2+0+1], a[176:191]
/* numPrefetchIter=0 */
/* dataAtIterA=0 numReadsIterA=3 skipReadsIterA=2 readsPerIterA=4 */
/* dataAtIterB=0 numReadsIterB=3 skipReadsIterB=2 readsPerIterB=3 */


/* iter 4 (last unrolled loop) */

/*  grEndMfmaIndex:0, lwStartMfmaIndex:83, lwEndMfmaIndex:83  */
/*  numMfmaForLR:11, barrierMfmaIndex:84, LocalWritePerMfma:0.240 */
/*  mfmaIndex:48  */
/* localReadsVacancy: latencyLeft 6 */
s_waitcnt lgkmcnt(7)                               // lgkmcnt=0 vmcnt=-1wait for prior local read local write old=0, new=7 newLW=0 newLR=7
v_mfma_f32_32x32x8_f16 a[0+0:15+0], v[vgprValuB_X4_I0+0+0+0:vgprValuB_X4_I0+0+0+0+1], v[vgprValuA_X4_I0+0+0+0:vgprValuA_X4_I0+0+0+0+1], a[0:15]
/*  mfmaIndex:49  */
/* localReadsVacancy: latencyLeft 6 */
v_mfma_f32_32x32x8_f16 a[16+0:31+0], v[vgprValuB_X4_I0+0+0+0:vgprValuB_X4_I0+0+0+0+1], v[vgprValuA_X4_I0+4+0+0:vgprValuA_X4_I0+4+0+0+1], a[16:31]
/*  mfmaIndex:50  */
/* localReadsVacancy: latencyLeft 6 */
	;; [unrolled: 3-line block ×11, first 2 shown]
v_mfma_f32_32x32x8_f16 a[176+0:191+0], v[vgprValuB_X4_I0+8+0+0:vgprValuB_X4_I0+8+0+0+1], v[vgprValuA_X4_I0+12+0+0:vgprValuA_X4_I0+12+0+0+1], a[176:191]
/* numPrefetchIter=0 */
/* dataAtIterA=1 numReadsIterA=3 skipReadsIterA=1 readsPerIterA=4 */
/* dataAtIterB=1 numReadsIterB=3 skipReadsIterB=1 readsPerIterB=3 */


/* iter 5 (last unrolled loop) */

/*  grEndMfmaIndex:0, lwStartMfmaIndex:83, lwEndMfmaIndex:83  */
/*  numMfmaForLR:11, barrierMfmaIndex:84, LocalWritePerMfma:0.240 */
/*  mfmaIndex:60  */
/* localReadsVacancy: latencyLeft 6 */
s_waitcnt lgkmcnt(7)                               // lgkmcnt=0 vmcnt=-1wait for prior local read local write old=0, new=7 newLW=0 newLR=7
v_mfma_f32_32x32x8_f16 a[0+0:15+0], v[vgprValuB_X4_I0+0+2+0:vgprValuB_X4_I0+0+2+0+1], v[vgprValuA_X4_I0+0+2+0:vgprValuA_X4_I0+0+2+0+1], a[0:15]
/*  mfmaIndex:61  */
/* localReadsVacancy: latencyLeft 6 */
v_mfma_f32_32x32x8_f16 a[16+0:31+0], v[vgprValuB_X4_I0+0+2+0:vgprValuB_X4_I0+0+2+0+1], v[vgprValuA_X4_I0+4+2+0:vgprValuA_X4_I0+4+2+0+1], a[16:31]
/*  mfmaIndex:62  */
/* localReadsVacancy: latencyLeft 6 */
	;; [unrolled: 3-line block ×11, first 2 shown]
v_mfma_f32_32x32x8_f16 a[176+0:191+0], v[vgprValuB_X4_I0+8+2+0:vgprValuB_X4_I0+8+2+0+1], v[vgprValuA_X4_I0+12+2+0:vgprValuA_X4_I0+12+2+0+1], a[176:191]
/* numPrefetchIter=0 */
/* dataAtIterA=1 numReadsIterA=3 skipReadsIterA=1 readsPerIterA=4 */
/* dataAtIterB=1 numReadsIterB=3 skipReadsIterB=1 readsPerIterB=3 */


/* iter 6 (last unrolled loop) */

/*  grEndMfmaIndex:0, lwStartMfmaIndex:83, lwEndMfmaIndex:83  */
/*  numMfmaForLR:11, barrierMfmaIndex:84, LocalWritePerMfma:0.240 */
/*  mfmaIndex:72  */
/* localReadsVacancy: latencyLeft 6 */
s_waitcnt lgkmcnt(0)                               // lgkmcnt=0 vmcnt=-1wait for prior local read local write old=0, new=0 newLW=0 newLR=0
v_mfma_f32_32x32x8_f16 a[0+0:15+0], v[vgprValuB_X6_I0+0+0+0:vgprValuB_X6_I0+0+0+0+1], v[vgprValuA_X6_I0+0+0+0:vgprValuA_X6_I0+0+0+0+1], a[0:15]
/*  mfmaIndex:73  */
/* localReadsVacancy: latencyLeft 6 */
v_mfma_f32_32x32x8_f16 a[16+0:31+0], v[vgprValuB_X6_I0+0+0+0:vgprValuB_X6_I0+0+0+0+1], v[vgprValuA_X6_I0+4+0+0:vgprValuA_X6_I0+4+0+0+1], a[16:31]
/*  mfmaIndex:74  */
/* localReadsVacancy: latencyLeft 6 */
	;; [unrolled: 3-line block ×10, first 2 shown]
/* 1 LDS buffer: read-sync-write */
s_waitcnt lgkmcnt(0)                               // 
s_barrier                                          // 
v_mfma_f32_32x32x8_f16 a[160+0:175+0], v[vgprValuB_X6_I0+8+0+0:vgprValuB_X6_I0+8+0+0+1], v[vgprValuA_X6_I0+8+0+0:vgprValuA_X6_I0+8+0+0+1], a[160:175]
/*  mfmaIndex:83  */
/* localReadsVacancy: latencyLeft 6 */
v_mfma_f32_32x32x8_f16 a[176+0:191+0], v[vgprValuB_X6_I0+8+0+0:vgprValuB_X6_I0+8+0+0+1], v[vgprValuA_X6_I0+12+0+0:vgprValuA_X6_I0+12+0+0+1], a[176:191]
/* numPrefetchIter=0 */
/* dataAtIterA=2 numReadsIterA=3 skipReadsIterA=0 readsPerIterA=4 */
/* dataAtIterB=2 numReadsIterB=3 skipReadsIterB=0 readsPerIterB=3 */


/* iter 7 (last unrolled loop) */

/*  grEndMfmaIndex:0, lwStartMfmaIndex:83, lwEndMfmaIndex:83  */
/*  numMfmaForLR:11, barrierMfmaIndex:84, LocalWritePerMfma:0.240 */
/*  mfmaIndex:84  */
v_mfma_f32_32x32x8_f16 a[0+0:15+0], v[vgprValuB_X6_I0+0+2+0:vgprValuB_X6_I0+0+2+0+1], v[vgprValuA_X6_I0+0+2+0:vgprValuA_X6_I0+0+2+0+1], a[0:15]
/*  mfmaIndex:85  */
v_mfma_f32_32x32x8_f16 a[16+0:31+0], v[vgprValuB_X6_I0+0+2+0:vgprValuB_X6_I0+0+2+0+1], v[vgprValuA_X6_I0+4+2+0:vgprValuA_X6_I0+4+2+0+1], a[16:31]
	;; [unrolled: 2-line block ×12, first 2 shown]

/* Stores for OptNLL */
Summation_End_OptNLL_18:
/* endSummation: add vgpr [0...172) to pool */
.set NumFullBlocks, UNDEF
.set WgmRemainder1, UNDEF
.set MagicNumberWgmRemainder1, UNDEF
.set ScalarGlobalReadOffsetA, UNDEF

/* Mapping of Acc register -> C Vgpr register */
/* computeStoreVgprs */
v_lshrrev_b32 v4, 6, v[vgprSerial]                 // v4 = v[vgprSerial] / 64
v_and_b32 v1, 63, v[vgprSerial]                    // v1 = v[vgprSerial] % 64
v_lshrrev_b32 v1, 5, v1                            // v1 = v1 / 32
v_lshlrev_b32 v1, 0x2, v1                          // thread0 * continuous_output
v_lshrrev_b32 v5, 1, v4                            // v5 = v4 / 2
v_mul_lo_u32 v5, 0x20, v5                          // wave coordination offset 1
_v_add_lshl_u32 v1, v5, v1, 0                      // coordination 1 = vwb *(wave_id1 + tid1)
v_mul_lo_u32 v2, v1, s[sgprStrideC1J]              //  offset 1
v_mul_lo_u32 v3, v1, s[sgprStrideD1J]              //  offset 1
v_and_b32 v5, 1, v4                                // v5 = v4 % 2
v_mul_lo_u32 v5, 0x20, v5                          // wave coordination offset 0
v_and_b32 v0, 31, v[vgprSerial]                    // v0 = v[vgprSerial] % 32
_v_add_lshl_u32 v0, v5, v0, 0                      // coordination 0 = vwa *(wave_id0 + tid0)
s_mul_i32 s52, 256, s[sgprWorkGroup0]              // wgp0 * MT0
_v_add_u32 v0, s52, v0                             // coord 0 = (tid0/MI_m)*4 + waveG0*MIB_m + MT0*SG0
s_mul_i32 s52, 192, s[sgprWorkGroup1]              // wgp1 * MT1
_v_add_u32 v1, s52, v1                             // coord 1 = (tid0%MI_m) + waveG1*MIB_n + MT1*SG1
GW_B0_E0_21:

/* edge=0, allocate 2 sgpr. perBatchTmpS=2 perBatchMaskS=0 perElementMaskS=0 elementsPerBatch=244 */
/* optSingleColVgpr=1 optSharedColVgpr=0 optSGPRUsage=BufferLoad_Mask optSrdIncForRow=1 */
s_sleep 3 // optimization: sync and wait
s_barrier

/******************************************/
/* Global Write Batch #0 (d1,d0,vc1,vc0) = */
/*    (0,0,0,0:vw1); (0,1,0,0:vw1); (0,2,0,0:vw1); (0,3,0,0:vw1); (0,0,1,0:vw1); (0,1,1,0:vw1); (0,2,1,0:vw1); (0,3,1,0:vw1); (0,0,2,0:vw1); (0,1,2,0:vw1); (0,2,2,0:vw1); (0,3,2,0:vw1); (0,0,3,0:vw1); (0,1,3,0:vw1); (0,2,3,0:vw1); (0,3,3,0:vw1); (1,0,0,0:vw1); (1,1,0,0:vw1); (1,2,0,0:vw1); (1,3,0,0:vw1); (1,0,1,0:vw1); (1,1,1,0:vw1); (1,2,1,0:vw1); (1,3,1,0:vw1); (1,0,2,0:vw1); (1,1,2,0:vw1); (1,2,2,0:vw1); (1,3,2,0:vw1); (1,0,3,0:vw1); (1,1,3,0:vw1); (1,2,3,0:vw1); (1,3,3,0:vw1); (2,0,0,0:vw1); (2,1,0,0:vw1); (2,2,0,0:vw1); (2,3,0,0:vw1); (2,0,1,0:vw1); (2,1,1,0:vw1); (2,2,1,0:vw1); (2,3,1,0:vw1); (2,0,2,0:vw1); (2,1,2,0:vw1); (2,2,2,0:vw1); (2,3,2,0:vw1); (2,0,3,0:vw1); (2,1,3,0:vw1); (2,2,3,0:vw1); (2,3,3,0:vw1); (3,0,0,0:vw1); (3,1,0,0:vw1); (3,2,0,0:vw1); (3,3,0,0:vw1); (3,0,1,0:vw1); (3,1,1,0:vw1); (3,2,1,0:vw1); (3,3,1,0:vw1); (3,0,2,0:vw1); (3,1,2,0:vw1); (3,2,2,0:vw1); (3,3,2,0:vw1); (3,0,3,0:vw1); (3,1,3,0:vw1); (3,2,3,0:vw1); (3,3,3,0:vw1); (4,0,0,0:vw1); (4,1,0,0:vw1); (4,2,0,0:vw1); (4,3,0,0:vw1); (4,0,1,0:vw1); (4,1,1,0:vw1); (4,2,1,0:vw1); (4,3,1,0:vw1); (4,0,2,0:vw1); (4,1,2,0:vw1); (4,2,2,0:vw1); (4,3,2,0:vw1); (4,0,3,0:vw1); (4,1,3,0:vw1); (4,2,3,0:vw1); (4,3,3,0:vw1); (5,0,0,0:vw1); (5,1,0,0:vw1); (5,2,0,0:vw1); (5,3,0,0:vw1); (5,0,1,0:vw1); (5,1,1,0:vw1); (5,2,1,0:vw1); (5,3,1,0:vw1); (5,0,2,0:vw1); (5,1,2,0:vw1); (5,2,2,0:vw1); (5,3,2,0:vw1); (5,0,3,0:vw1); (5,1,3,0:vw1); (5,2,3,0:vw1); (5,3,3,0:vw1); (6,0,0,0:vw1); (6,1,0,0:vw1); (6,2,0,0:vw1); (6,3,0,0:vw1); (6,0,1,0:vw1); (6,1,1,0:vw1); (6,2,1,0:vw1); (6,3,1,0:vw1); (6,0,2,0:vw1); (6,1,2,0:vw1); (6,2,2,0:vw1); (6,3,2,0:vw1); (6,0,3,0:vw1); (6,1,3,0:vw1); (6,2,3,0:vw1); (6,3,3,0:vw1); (7,0,0,0:vw1); (7,1,0,0:vw1); (7,2,0,0:vw1); (7,3,0,0:vw1); (7,0,1,0:vw1); (7,1,1,0:vw1); (7,2,1,0:vw1); (7,3,1,0:vw1); (7,0,2,0:vw1); (7,1,2,0:vw1); (7,2,2,0:vw1); (7,3,2,0:vw1); (7,0,3,0:vw1); (7,1,3,0:vw1); (7,2,3,0:vw1); (7,3,3,0:vw1); (8,0,0,0:vw1); (8,1,0,0:vw1); (8,2,0,0:vw1); (8,3,0,0:vw1); (8,0,1,0:vw1); (8,1,1,0:vw1); (8,2,1,0:vw1); (8,3,1,0:vw1); (8,0,2,0:vw1); (8,1,2,0:vw1); (8,2,2,0:vw1); (8,3,2,0:vw1); (8,0,3,0:vw1); (8,1,3,0:vw1); (8,2,3,0:vw1); (8,3,3,0:vw1); (9,0,0,0:vw1); (9,1,0,0:vw1); (9,2,0,0:vw1); (9,3,0,0:vw1); (9,0,1,0:vw1); (9,1,1,0:vw1); (9,2,1,0:vw1); (9,3,1,0:vw1); (9,0,2,0:vw1); (9,1,2,0:vw1); (9,2,2,0:vw1); (9,3,2,0:vw1); (9,0,3,0:vw1); (9,1,3,0:vw1); (9,2,3,0:vw1); (9,3,3,0:vw1); (10,0,0,0:vw1); (10,1,0,0:vw1); (10,2,0,0:vw1); (10,3,0,0:vw1); (10,0,1,0:vw1); (10,1,1,0:vw1); (10,2,1,0:vw1); (10,3,1,0:vw1); (10,0,2,0:vw1); (10,1,2,0:vw1); (10,2,2,0:vw1); (10,3,2,0:vw1); (10,0,3,0:vw1); (10,1,3,0:vw1); (10,2,3,0:vw1); (10,3,3,0:vw1); (11,0,0,0:vw1); (11,1,0,0:vw1); (11,2,0,0:vw1); (11,3,0,0:vw1); (11,0,1,0:vw1); (11,1,1,0:vw1); (11,2,1,0:vw1); (11,3,1,0:vw1); (11,0,2,0:vw1); (11,1,2,0:vw1); (11,2,2,0:vw1); (11,3,2,0:vw1); (11,0,3,0:vw1); (11,1,3,0:vw1); (11,2,3,0:vw1); (11,3,3,0:vw1) */
/******************************************/

/* calc coords, apply mask, and issue loads (if necessary) */
/* (d1,vc1,d0,vc0)=(0,0,0,0) */
/* (d1,vc1,d0,vc0)=(0,0,1,0) */
/* (d1,vc1,d0,vc0)=(0,0,2,0) */
/* (d1,vc1,d0,vc0)=(0,0,3,0) */
/* (d1,vc1,d0,vc0)=(0,1,0,0) */
/* (d1,vc1,d0,vc0)=(0,1,1,0) */
/* (d1,vc1,d0,vc0)=(0,1,2,0) */
/* (d1,vc1,d0,vc0)=(0,1,3,0) */
/* (d1,vc1,d0,vc0)=(0,2,0,0) */
/* (d1,vc1,d0,vc0)=(0,2,1,0) */
/* (d1,vc1,d0,vc0)=(0,2,2,0) */
/* (d1,vc1,d0,vc0)=(0,2,3,0) */
/* (d1,vc1,d0,vc0)=(0,3,0,0) */
/* (d1,vc1,d0,vc0)=(0,3,1,0) */
/* (d1,vc1,d0,vc0)=(0,3,2,0) */
/* (d1,vc1,d0,vc0)=(0,3,3,0) */
/* (d1,vc1,d0,vc0)=(1,0,0,0) */
/* (d1,vc1,d0,vc0)=(1,0,1,0) */
/* (d1,vc1,d0,vc0)=(1,0,2,0) */
/* (d1,vc1,d0,vc0)=(1,0,3,0) */
/* (d1,vc1,d0,vc0)=(1,1,0,0) */
/* (d1,vc1,d0,vc0)=(1,1,1,0) */
/* (d1,vc1,d0,vc0)=(1,1,2,0) */
/* (d1,vc1,d0,vc0)=(1,1,3,0) */
/* (d1,vc1,d0,vc0)=(1,2,0,0) */
/* (d1,vc1,d0,vc0)=(1,2,1,0) */
/* (d1,vc1,d0,vc0)=(1,2,2,0) */
/* (d1,vc1,d0,vc0)=(1,2,3,0) */
/* (d1,vc1,d0,vc0)=(1,3,0,0) */
/* (d1,vc1,d0,vc0)=(1,3,1,0) */
/* (d1,vc1,d0,vc0)=(1,3,2,0) */
/* (d1,vc1,d0,vc0)=(1,3,3,0) */
/* (d1,vc1,d0,vc0)=(2,0,0,0) */
/* (d1,vc1,d0,vc0)=(2,0,1,0) */
/* (d1,vc1,d0,vc0)=(2,0,2,0) */
/* (d1,vc1,d0,vc0)=(2,0,3,0) */
/* (d1,vc1,d0,vc0)=(2,1,0,0) */
/* (d1,vc1,d0,vc0)=(2,1,1,0) */
/* (d1,vc1,d0,vc0)=(2,1,2,0) */
/* (d1,vc1,d0,vc0)=(2,1,3,0) */
/* (d1,vc1,d0,vc0)=(2,2,0,0) */
/* (d1,vc1,d0,vc0)=(2,2,1,0) */
/* (d1,vc1,d0,vc0)=(2,2,2,0) */
/* (d1,vc1,d0,vc0)=(2,2,3,0) */
/* (d1,vc1,d0,vc0)=(2,3,0,0) */
/* (d1,vc1,d0,vc0)=(2,3,1,0) */
/* (d1,vc1,d0,vc0)=(2,3,2,0) */
/* (d1,vc1,d0,vc0)=(2,3,3,0) */
/* (d1,vc1,d0,vc0)=(3,0,0,0) */
/* (d1,vc1,d0,vc0)=(3,0,1,0) */
/* (d1,vc1,d0,vc0)=(3,0,2,0) */
/* (d1,vc1,d0,vc0)=(3,0,3,0) */
/* (d1,vc1,d0,vc0)=(3,1,0,0) */
/* (d1,vc1,d0,vc0)=(3,1,1,0) */
/* (d1,vc1,d0,vc0)=(3,1,2,0) */
/* (d1,vc1,d0,vc0)=(3,1,3,0) */
/* (d1,vc1,d0,vc0)=(3,2,0,0) */
/* (d1,vc1,d0,vc0)=(3,2,1,0) */
/* (d1,vc1,d0,vc0)=(3,2,2,0) */
/* (d1,vc1,d0,vc0)=(3,2,3,0) */
/* (d1,vc1,d0,vc0)=(3,3,0,0) */
/* (d1,vc1,d0,vc0)=(3,3,1,0) */
/* (d1,vc1,d0,vc0)=(3,3,2,0) */
/* (d1,vc1,d0,vc0)=(3,3,3,0) */
/* (d1,vc1,d0,vc0)=(4,0,0,0) */
/* (d1,vc1,d0,vc0)=(4,0,1,0) */
/* (d1,vc1,d0,vc0)=(4,0,2,0) */
/* (d1,vc1,d0,vc0)=(4,0,3,0) */
/* (d1,vc1,d0,vc0)=(4,1,0,0) */
/* (d1,vc1,d0,vc0)=(4,1,1,0) */
/* (d1,vc1,d0,vc0)=(4,1,2,0) */
/* (d1,vc1,d0,vc0)=(4,1,3,0) */
/* (d1,vc1,d0,vc0)=(4,2,0,0) */
/* (d1,vc1,d0,vc0)=(4,2,1,0) */
/* (d1,vc1,d0,vc0)=(4,2,2,0) */
/* (d1,vc1,d0,vc0)=(4,2,3,0) */
/* (d1,vc1,d0,vc0)=(4,3,0,0) */
/* (d1,vc1,d0,vc0)=(4,3,1,0) */
/* (d1,vc1,d0,vc0)=(4,3,2,0) */
/* (d1,vc1,d0,vc0)=(4,3,3,0) */
/* (d1,vc1,d0,vc0)=(5,0,0,0) */
/* (d1,vc1,d0,vc0)=(5,0,1,0) */
/* (d1,vc1,d0,vc0)=(5,0,2,0) */
/* (d1,vc1,d0,vc0)=(5,0,3,0) */
/* (d1,vc1,d0,vc0)=(5,1,0,0) */
/* (d1,vc1,d0,vc0)=(5,1,1,0) */
/* (d1,vc1,d0,vc0)=(5,1,2,0) */
/* (d1,vc1,d0,vc0)=(5,1,3,0) */
/* (d1,vc1,d0,vc0)=(5,2,0,0) */
/* (d1,vc1,d0,vc0)=(5,2,1,0) */
/* (d1,vc1,d0,vc0)=(5,2,2,0) */
/* (d1,vc1,d0,vc0)=(5,2,3,0) */
/* (d1,vc1,d0,vc0)=(5,3,0,0) */
/* (d1,vc1,d0,vc0)=(5,3,1,0) */
/* (d1,vc1,d0,vc0)=(5,3,2,0) */
/* (d1,vc1,d0,vc0)=(5,3,3,0) */
/* (d1,vc1,d0,vc0)=(6,0,0,0) */
/* (d1,vc1,d0,vc0)=(6,0,1,0) */
/* (d1,vc1,d0,vc0)=(6,0,2,0) */
/* (d1,vc1,d0,vc0)=(6,0,3,0) */
/* (d1,vc1,d0,vc0)=(6,1,0,0) */
/* (d1,vc1,d0,vc0)=(6,1,1,0) */
/* (d1,vc1,d0,vc0)=(6,1,2,0) */
/* (d1,vc1,d0,vc0)=(6,1,3,0) */
/* (d1,vc1,d0,vc0)=(6,2,0,0) */
/* (d1,vc1,d0,vc0)=(6,2,1,0) */
/* (d1,vc1,d0,vc0)=(6,2,2,0) */
/* (d1,vc1,d0,vc0)=(6,2,3,0) */
/* (d1,vc1,d0,vc0)=(6,3,0,0) */
/* (d1,vc1,d0,vc0)=(6,3,1,0) */
/* (d1,vc1,d0,vc0)=(6,3,2,0) */
/* (d1,vc1,d0,vc0)=(6,3,3,0) */
/* (d1,vc1,d0,vc0)=(7,0,0,0) */
/* (d1,vc1,d0,vc0)=(7,0,1,0) */
/* (d1,vc1,d0,vc0)=(7,0,2,0) */
/* (d1,vc1,d0,vc0)=(7,0,3,0) */
/* (d1,vc1,d0,vc0)=(7,1,0,0) */
/* (d1,vc1,d0,vc0)=(7,1,1,0) */
/* (d1,vc1,d0,vc0)=(7,1,2,0) */
/* (d1,vc1,d0,vc0)=(7,1,3,0) */
/* (d1,vc1,d0,vc0)=(7,2,0,0) */
/* (d1,vc1,d0,vc0)=(7,2,1,0) */
/* (d1,vc1,d0,vc0)=(7,2,2,0) */
/* (d1,vc1,d0,vc0)=(7,2,3,0) */
/* (d1,vc1,d0,vc0)=(7,3,0,0) */
/* (d1,vc1,d0,vc0)=(7,3,1,0) */
/* (d1,vc1,d0,vc0)=(7,3,2,0) */
/* (d1,vc1,d0,vc0)=(7,3,3,0) */
/* (d1,vc1,d0,vc0)=(8,0,0,0) */
/* (d1,vc1,d0,vc0)=(8,0,1,0) */
/* (d1,vc1,d0,vc0)=(8,0,2,0) */
/* (d1,vc1,d0,vc0)=(8,0,3,0) */
/* (d1,vc1,d0,vc0)=(8,1,0,0) */
/* (d1,vc1,d0,vc0)=(8,1,1,0) */
/* (d1,vc1,d0,vc0)=(8,1,2,0) */
/* (d1,vc1,d0,vc0)=(8,1,3,0) */
/* (d1,vc1,d0,vc0)=(8,2,0,0) */
/* (d1,vc1,d0,vc0)=(8,2,1,0) */
/* (d1,vc1,d0,vc0)=(8,2,2,0) */
/* (d1,vc1,d0,vc0)=(8,2,3,0) */
/* (d1,vc1,d0,vc0)=(8,3,0,0) */
/* (d1,vc1,d0,vc0)=(8,3,1,0) */
/* (d1,vc1,d0,vc0)=(8,3,2,0) */
/* (d1,vc1,d0,vc0)=(8,3,3,0) */
/* (d1,vc1,d0,vc0)=(9,0,0,0) */
/* (d1,vc1,d0,vc0)=(9,0,1,0) */
/* (d1,vc1,d0,vc0)=(9,0,2,0) */
/* (d1,vc1,d0,vc0)=(9,0,3,0) */
/* (d1,vc1,d0,vc0)=(9,1,0,0) */
/* (d1,vc1,d0,vc0)=(9,1,1,0) */
/* (d1,vc1,d0,vc0)=(9,1,2,0) */
/* (d1,vc1,d0,vc0)=(9,1,3,0) */
/* (d1,vc1,d0,vc0)=(9,2,0,0) */
/* (d1,vc1,d0,vc0)=(9,2,1,0) */
/* (d1,vc1,d0,vc0)=(9,2,2,0) */
/* (d1,vc1,d0,vc0)=(9,2,3,0) */
/* (d1,vc1,d0,vc0)=(9,3,0,0) */
/* (d1,vc1,d0,vc0)=(9,3,1,0) */
/* (d1,vc1,d0,vc0)=(9,3,2,0) */
/* (d1,vc1,d0,vc0)=(9,3,3,0) */
/* (d1,vc1,d0,vc0)=(10,0,0,0) */
/* (d1,vc1,d0,vc0)=(10,0,1,0) */
/* (d1,vc1,d0,vc0)=(10,0,2,0) */
/* (d1,vc1,d0,vc0)=(10,0,3,0) */
/* (d1,vc1,d0,vc0)=(10,1,0,0) */
/* (d1,vc1,d0,vc0)=(10,1,1,0) */
/* (d1,vc1,d0,vc0)=(10,1,2,0) */
/* (d1,vc1,d0,vc0)=(10,1,3,0) */
/* (d1,vc1,d0,vc0)=(10,2,0,0) */
/* (d1,vc1,d0,vc0)=(10,2,1,0) */
/* (d1,vc1,d0,vc0)=(10,2,2,0) */
/* (d1,vc1,d0,vc0)=(10,2,3,0) */
/* (d1,vc1,d0,vc0)=(10,3,0,0) */
/* (d1,vc1,d0,vc0)=(10,3,1,0) */
/* (d1,vc1,d0,vc0)=(10,3,2,0) */
/* (d1,vc1,d0,vc0)=(10,3,3,0) */
/* (d1,vc1,d0,vc0)=(11,0,0,0) */
/* (d1,vc1,d0,vc0)=(11,0,1,0) */
/* (d1,vc1,d0,vc0)=(11,0,2,0) */
/* (d1,vc1,d0,vc0)=(11,0,3,0) */
/* (d1,vc1,d0,vc0)=(11,1,0,0) */
/* (d1,vc1,d0,vc0)=(11,1,1,0) */
/* (d1,vc1,d0,vc0)=(11,1,2,0) */
/* (d1,vc1,d0,vc0)=(11,1,3,0) */
/* (d1,vc1,d0,vc0)=(11,2,0,0) */
/* (d1,vc1,d0,vc0)=(11,2,1,0) */
/* (d1,vc1,d0,vc0)=(11,2,2,0) */
/* (d1,vc1,d0,vc0)=(11,2,3,0) */
/* (d1,vc1,d0,vc0)=(11,3,0,0) */
/* (d1,vc1,d0,vc0)=(11,3,1,0) */
/* (d1,vc1,d0,vc0)=(11,3,2,0) */
/* (d1,vc1,d0,vc0)=(11,3,3,0) */
_v_add_lshl_u32 v6, v3, v0, 0x1                    // optSingleColVgpr scaleToBpe: sharedAddrVgpr <- cinRowPtr + coord0, scaled by BPE. BSHERE:coord0=0, coord0Vgpr=0
v_accvgpr_read_b32 v[vgprValuC+8], acc0 // copy acc to vreg[0]
v_accvgpr_read_b32 v[vgprValuC+9], acc16 // copy acc to vreg[1]
v_accvgpr_read_b32 v[vgprValuC+10], acc32 // copy acc to vreg[2]
v_accvgpr_read_b32 v[vgprValuC+11], acc48 // copy acc to vreg[3]
v_accvgpr_read_b32 v[vgprValuC+12], acc1 // copy acc to vreg[4]
v_accvgpr_read_b32 v[vgprValuC+13], acc17 // copy acc to vreg[5]
v_accvgpr_read_b32 v[vgprValuC+14], acc33 // copy acc to vreg[6]
v_accvgpr_read_b32 v[vgprValuC+15], acc49 // copy acc to vreg[7]
v_accvgpr_read_b32 v[vgprValuC+16], acc2 // copy acc to vreg[8]
v_accvgpr_read_b32 v[vgprValuC+17], acc18 // copy acc to vreg[9]
v_accvgpr_read_b32 v[vgprValuC+18], acc34 // copy acc to vreg[10]
v_accvgpr_read_b32 v[vgprValuC+19], acc50 // copy acc to vreg[11]
v_accvgpr_read_b32 v[vgprValuC+20], acc3 // copy acc to vreg[12]
v_accvgpr_read_b32 v[vgprValuC+21], acc19 // copy acc to vreg[13]
v_accvgpr_read_b32 v[vgprValuC+22], acc35 // copy acc to vreg[14]
v_accvgpr_read_b32 v[vgprValuC+23], acc51 // copy acc to vreg[15]
v_accvgpr_read_b32 v[vgprValuC+24], acc4 // copy acc to vreg[16]
v_accvgpr_read_b32 v[vgprValuC+25], acc20 // copy acc to vreg[17]
v_accvgpr_read_b32 v[vgprValuC+26], acc36 // copy acc to vreg[18]
v_accvgpr_read_b32 v[vgprValuC+27], acc52 // copy acc to vreg[19]
v_accvgpr_read_b32 v[vgprValuC+28], acc5 // copy acc to vreg[20]
v_accvgpr_read_b32 v[vgprValuC+29], acc21 // copy acc to vreg[21]
v_accvgpr_read_b32 v[vgprValuC+30], acc37 // copy acc to vreg[22]
v_accvgpr_read_b32 v[vgprValuC+31], acc53 // copy acc to vreg[23]
v_accvgpr_read_b32 v[vgprValuC+32], acc6 // copy acc to vreg[24]
v_accvgpr_read_b32 v[vgprValuC+33], acc22 // copy acc to vreg[25]
v_accvgpr_read_b32 v[vgprValuC+34], acc38 // copy acc to vreg[26]
v_accvgpr_read_b32 v[vgprValuC+35], acc54 // copy acc to vreg[27]
v_accvgpr_read_b32 v[vgprValuC+36], acc7 // copy acc to vreg[28]
v_accvgpr_read_b32 v[vgprValuC+37], acc23 // copy acc to vreg[29]
v_accvgpr_read_b32 v[vgprValuC+38], acc39 // copy acc to vreg[30]
v_accvgpr_read_b32 v[vgprValuC+39], acc55 // copy acc to vreg[31]
v_accvgpr_read_b32 v[vgprValuC+40], acc8 // copy acc to vreg[32]
v_accvgpr_read_b32 v[vgprValuC+41], acc24 // copy acc to vreg[33]
v_accvgpr_read_b32 v[vgprValuC+42], acc40 // copy acc to vreg[34]
v_accvgpr_read_b32 v[vgprValuC+43], acc56 // copy acc to vreg[35]
v_accvgpr_read_b32 v[vgprValuC+44], acc9 // copy acc to vreg[36]
v_accvgpr_read_b32 v[vgprValuC+45], acc25 // copy acc to vreg[37]
v_accvgpr_read_b32 v[vgprValuC+46], acc41 // copy acc to vreg[38]
v_accvgpr_read_b32 v[vgprValuC+47], acc57 // copy acc to vreg[39]
v_accvgpr_read_b32 v[vgprValuC+48], acc10 // copy acc to vreg[40]
v_accvgpr_read_b32 v[vgprValuC+49], acc26 // copy acc to vreg[41]
v_accvgpr_read_b32 v[vgprValuC+50], acc42 // copy acc to vreg[42]
v_accvgpr_read_b32 v[vgprValuC+51], acc58 // copy acc to vreg[43]
v_accvgpr_read_b32 v[vgprValuC+52], acc11 // copy acc to vreg[44]
v_accvgpr_read_b32 v[vgprValuC+53], acc27 // copy acc to vreg[45]
v_accvgpr_read_b32 v[vgprValuC+54], acc43 // copy acc to vreg[46]
v_accvgpr_read_b32 v[vgprValuC+55], acc59 // copy acc to vreg[47]
v_accvgpr_read_b32 v[vgprValuC+56], acc12 // copy acc to vreg[48]
v_accvgpr_read_b32 v[vgprValuC+57], acc28 // copy acc to vreg[49]
v_accvgpr_read_b32 v[vgprValuC+58], acc44 // copy acc to vreg[50]
v_accvgpr_read_b32 v[vgprValuC+59], acc60 // copy acc to vreg[51]
v_accvgpr_read_b32 v[vgprValuC+60], acc13 // copy acc to vreg[52]
v_accvgpr_read_b32 v[vgprValuC+61], acc29 // copy acc to vreg[53]
v_accvgpr_read_b32 v[vgprValuC+62], acc45 // copy acc to vreg[54]
v_accvgpr_read_b32 v[vgprValuC+63], acc61 // copy acc to vreg[55]
v_accvgpr_read_b32 v[vgprValuC+64], acc14 // copy acc to vreg[56]
v_accvgpr_read_b32 v[vgprValuC+65], acc30 // copy acc to vreg[57]
v_accvgpr_read_b32 v[vgprValuC+66], acc46 // copy acc to vreg[58]
v_accvgpr_read_b32 v[vgprValuC+67], acc62 // copy acc to vreg[59]
v_accvgpr_read_b32 v[vgprValuC+68], acc15 // copy acc to vreg[60]
v_accvgpr_read_b32 v[vgprValuC+69], acc31 // copy acc to vreg[61]
v_accvgpr_read_b32 v[vgprValuC+70], acc47 // copy acc to vreg[62]
v_accvgpr_read_b32 v[vgprValuC+71], acc63 // copy acc to vreg[63]
v_accvgpr_read_b32 v[vgprValuC+72], acc64 // copy acc to vreg[64]
v_accvgpr_read_b32 v[vgprValuC+73], acc80 // copy acc to vreg[65]
v_accvgpr_read_b32 v[vgprValuC+74], acc96 // copy acc to vreg[66]
v_accvgpr_read_b32 v[vgprValuC+75], acc112 // copy acc to vreg[67]
v_accvgpr_read_b32 v[vgprValuC+76], acc65 // copy acc to vreg[68]
v_accvgpr_read_b32 v[vgprValuC+77], acc81 // copy acc to vreg[69]
v_accvgpr_read_b32 v[vgprValuC+78], acc97 // copy acc to vreg[70]
v_accvgpr_read_b32 v[vgprValuC+79], acc113 // copy acc to vreg[71]
v_accvgpr_read_b32 v[vgprValuC+80], acc66 // copy acc to vreg[72]
v_accvgpr_read_b32 v[vgprValuC+81], acc82 // copy acc to vreg[73]
v_accvgpr_read_b32 v[vgprValuC+82], acc98 // copy acc to vreg[74]
v_accvgpr_read_b32 v[vgprValuC+83], acc114 // copy acc to vreg[75]
v_accvgpr_read_b32 v[vgprValuC+84], acc67 // copy acc to vreg[76]
v_accvgpr_read_b32 v[vgprValuC+85], acc83 // copy acc to vreg[77]
v_accvgpr_read_b32 v[vgprValuC+86], acc99 // copy acc to vreg[78]
v_accvgpr_read_b32 v[vgprValuC+87], acc115 // copy acc to vreg[79]
v_accvgpr_read_b32 v[vgprValuC+88], acc68 // copy acc to vreg[80]
v_accvgpr_read_b32 v[vgprValuC+89], acc84 // copy acc to vreg[81]
v_accvgpr_read_b32 v[vgprValuC+90], acc100 // copy acc to vreg[82]
v_accvgpr_read_b32 v[vgprValuC+91], acc116 // copy acc to vreg[83]
v_accvgpr_read_b32 v[vgprValuC+92], acc69 // copy acc to vreg[84]
v_accvgpr_read_b32 v[vgprValuC+93], acc85 // copy acc to vreg[85]
v_accvgpr_read_b32 v[vgprValuC+94], acc101 // copy acc to vreg[86]
v_accvgpr_read_b32 v[vgprValuC+95], acc117 // copy acc to vreg[87]
v_accvgpr_read_b32 v[vgprValuC+96], acc70 // copy acc to vreg[88]
v_accvgpr_read_b32 v[vgprValuC+97], acc86 // copy acc to vreg[89]
v_accvgpr_read_b32 v[vgprValuC+98], acc102 // copy acc to vreg[90]
v_accvgpr_read_b32 v[vgprValuC+99], acc118 // copy acc to vreg[91]
v_accvgpr_read_b32 v[vgprValuC+100], acc71 // copy acc to vreg[92]
v_accvgpr_read_b32 v[vgprValuC+101], acc87 // copy acc to vreg[93]
v_accvgpr_read_b32 v[vgprValuC+102], acc103 // copy acc to vreg[94]
v_accvgpr_read_b32 v[vgprValuC+103], acc119 // copy acc to vreg[95]
v_accvgpr_read_b32 v[vgprValuC+104], acc72 // copy acc to vreg[96]
v_accvgpr_read_b32 v[vgprValuC+105], acc88 // copy acc to vreg[97]
v_accvgpr_read_b32 v[vgprValuC+106], acc104 // copy acc to vreg[98]
v_accvgpr_read_b32 v[vgprValuC+107], acc120 // copy acc to vreg[99]
v_accvgpr_read_b32 v[vgprValuC+108], acc73 // copy acc to vreg[100]
v_accvgpr_read_b32 v[vgprValuC+109], acc89 // copy acc to vreg[101]
v_accvgpr_read_b32 v[vgprValuC+110], acc105 // copy acc to vreg[102]
v_accvgpr_read_b32 v[vgprValuC+111], acc121 // copy acc to vreg[103]
v_accvgpr_read_b32 v[vgprValuC+112], acc74 // copy acc to vreg[104]
v_accvgpr_read_b32 v[vgprValuC+113], acc90 // copy acc to vreg[105]
v_accvgpr_read_b32 v[vgprValuC+114], acc106 // copy acc to vreg[106]
v_accvgpr_read_b32 v[vgprValuC+115], acc122 // copy acc to vreg[107]
v_accvgpr_read_b32 v[vgprValuC+116], acc75 // copy acc to vreg[108]
v_accvgpr_read_b32 v[vgprValuC+117], acc91 // copy acc to vreg[109]
v_accvgpr_read_b32 v[vgprValuC+118], acc107 // copy acc to vreg[110]
v_accvgpr_read_b32 v[vgprValuC+119], acc123 // copy acc to vreg[111]
v_accvgpr_read_b32 v[vgprValuC+120], acc76 // copy acc to vreg[112]
v_accvgpr_read_b32 v[vgprValuC+121], acc92 // copy acc to vreg[113]
v_accvgpr_read_b32 v[vgprValuC+122], acc108 // copy acc to vreg[114]
v_accvgpr_read_b32 v[vgprValuC+123], acc124 // copy acc to vreg[115]
v_accvgpr_read_b32 v[vgprValuC+124], acc77 // copy acc to vreg[116]
v_accvgpr_read_b32 v[vgprValuC+125], acc93 // copy acc to vreg[117]
v_accvgpr_read_b32 v[vgprValuC+126], acc109 // copy acc to vreg[118]
v_accvgpr_read_b32 v[vgprValuC+127], acc125 // copy acc to vreg[119]
v_accvgpr_read_b32 v[vgprValuC+128], acc78 // copy acc to vreg[120]
v_accvgpr_read_b32 v[vgprValuC+129], acc94 // copy acc to vreg[121]
v_accvgpr_read_b32 v[vgprValuC+130], acc110 // copy acc to vreg[122]
v_accvgpr_read_b32 v[vgprValuC+131], acc126 // copy acc to vreg[123]
v_accvgpr_read_b32 v[vgprValuC+132], acc79 // copy acc to vreg[124]
v_accvgpr_read_b32 v[vgprValuC+133], acc95 // copy acc to vreg[125]
v_accvgpr_read_b32 v[vgprValuC+134], acc111 // copy acc to vreg[126]
v_accvgpr_read_b32 v[vgprValuC+135], acc127 // copy acc to vreg[127]
v_accvgpr_read_b32 v[vgprValuC+136], acc128 // copy acc to vreg[128]
v_accvgpr_read_b32 v[vgprValuC+137], acc144 // copy acc to vreg[129]
v_accvgpr_read_b32 v[vgprValuC+138], acc160 // copy acc to vreg[130]
v_accvgpr_read_b32 v[vgprValuC+139], acc176 // copy acc to vreg[131]
v_accvgpr_read_b32 v[vgprValuC+140], acc129 // copy acc to vreg[132]
v_accvgpr_read_b32 v[vgprValuC+141], acc145 // copy acc to vreg[133]
v_accvgpr_read_b32 v[vgprValuC+142], acc161 // copy acc to vreg[134]
v_accvgpr_read_b32 v[vgprValuC+143], acc177 // copy acc to vreg[135]
v_accvgpr_read_b32 v[vgprValuC+144], acc130 // copy acc to vreg[136]
v_accvgpr_read_b32 v[vgprValuC+145], acc146 // copy acc to vreg[137]
v_accvgpr_read_b32 v[vgprValuC+146], acc162 // copy acc to vreg[138]
v_accvgpr_read_b32 v[vgprValuC+147], acc178 // copy acc to vreg[139]
v_accvgpr_read_b32 v[vgprValuC+148], acc131 // copy acc to vreg[140]
v_accvgpr_read_b32 v[vgprValuC+149], acc147 // copy acc to vreg[141]
v_accvgpr_read_b32 v[vgprValuC+150], acc163 // copy acc to vreg[142]
v_accvgpr_read_b32 v[vgprValuC+151], acc179 // copy acc to vreg[143]
v_accvgpr_read_b32 v[vgprValuC+152], acc132 // copy acc to vreg[144]
v_accvgpr_read_b32 v[vgprValuC+153], acc148 // copy acc to vreg[145]
v_accvgpr_read_b32 v[vgprValuC+154], acc164 // copy acc to vreg[146]
v_accvgpr_read_b32 v[vgprValuC+155], acc180 // copy acc to vreg[147]
v_accvgpr_read_b32 v[vgprValuC+156], acc133 // copy acc to vreg[148]
v_accvgpr_read_b32 v[vgprValuC+157], acc149 // copy acc to vreg[149]
v_accvgpr_read_b32 v[vgprValuC+158], acc165 // copy acc to vreg[150]
v_accvgpr_read_b32 v[vgprValuC+159], acc181 // copy acc to vreg[151]
v_accvgpr_read_b32 v[vgprValuC+160], acc134 // copy acc to vreg[152]
v_accvgpr_read_b32 v[vgprValuC+161], acc150 // copy acc to vreg[153]
v_accvgpr_read_b32 v[vgprValuC+162], acc166 // copy acc to vreg[154]
v_accvgpr_read_b32 v[vgprValuC+163], acc182 // copy acc to vreg[155]
v_accvgpr_read_b32 v[vgprValuC+164], acc135 // copy acc to vreg[156]
v_accvgpr_read_b32 v[vgprValuC+165], acc151 // copy acc to vreg[157]
v_accvgpr_read_b32 v[vgprValuC+166], acc167 // copy acc to vreg[158]
v_accvgpr_read_b32 v[vgprValuC+167], acc183 // copy acc to vreg[159]
v_accvgpr_read_b32 v[vgprValuC+168], acc136 // copy acc to vreg[160]
v_accvgpr_read_b32 v[vgprValuC+169], acc152 // copy acc to vreg[161]
v_accvgpr_read_b32 v[vgprValuC+170], acc168 // copy acc to vreg[162]
v_accvgpr_read_b32 v[vgprValuC+171], acc184 // copy acc to vreg[163]
v_accvgpr_read_b32 v[vgprValuC+175], acc137 // copy acc to vreg[164]
v_accvgpr_read_b32 v[vgprValuC+176], acc153 // copy acc to vreg[165]
v_accvgpr_read_b32 v[vgprValuC+177], acc169 // copy acc to vreg[166]
v_accvgpr_read_b32 v[vgprValuC+178], acc185 // copy acc to vreg[167]
v_accvgpr_read_b32 v[vgprValuC+179], acc138 // copy acc to vreg[168]
v_accvgpr_read_b32 v[vgprValuC+180], acc154 // copy acc to vreg[169]
v_accvgpr_read_b32 v[vgprValuC+181], acc170 // copy acc to vreg[170]
v_accvgpr_read_b32 v[vgprValuC+182], acc186 // copy acc to vreg[171]
v_accvgpr_read_b32 v[vgprValuC+183], acc139 // copy acc to vreg[172]
v_accvgpr_read_b32 v[vgprValuC+184], acc155 // copy acc to vreg[173]
v_accvgpr_read_b32 v[vgprValuC+185], acc171 // copy acc to vreg[174]
v_accvgpr_read_b32 v[vgprValuC+186], acc187 // copy acc to vreg[175]
v_accvgpr_read_b32 v[vgprValuC+187], acc140 // copy acc to vreg[176]
v_accvgpr_read_b32 v[vgprValuC+188], acc156 // copy acc to vreg[177]
v_accvgpr_read_b32 v[vgprValuC+189], acc172 // copy acc to vreg[178]
v_accvgpr_read_b32 v[vgprValuC+190], acc188 // copy acc to vreg[179]
v_accvgpr_read_b32 v[vgprValuC+191], acc141 // copy acc to vreg[180]
v_accvgpr_read_b32 v[vgprValuC+192], acc157 // copy acc to vreg[181]
v_accvgpr_read_b32 v[vgprValuC+193], acc173 // copy acc to vreg[182]
v_accvgpr_read_b32 v[vgprValuC+194], acc189 // copy acc to vreg[183]
v_accvgpr_read_b32 v[vgprValuC+195], acc142 // copy acc to vreg[184]
v_accvgpr_read_b32 v[vgprValuC+196], acc158 // copy acc to vreg[185]
v_accvgpr_read_b32 v[vgprValuC+197], acc174 // copy acc to vreg[186]
v_accvgpr_read_b32 v[vgprValuC+198], acc190 // copy acc to vreg[187]
v_accvgpr_read_b32 v[vgprValuC+199], acc143 // copy acc to vreg[188]
v_accvgpr_read_b32 v[vgprValuC+200], acc159 // copy acc to vreg[189]
v_accvgpr_read_b32 v[vgprValuC+201], acc175 // copy acc to vreg[190]
v_accvgpr_read_b32 v[vgprValuC+202], acc191 // copy acc to vreg[191]
s_nop 1                                            // 2 wait states required before reading vgpr

/* apply mask, calc new C and issue writes */
v_cvt_f16_f32 v[vgprValuC+8], v[vgprValuC+8]       // convert C to fp16
v_cvt_f16_f32 v[vgprValuC+9], v[vgprValuC+9]       // convert C to fp16
v_cvt_f16_f32 v[vgprValuC+10], v[vgprValuC+10]     // convert C to fp16
v_cvt_f16_f32 v[vgprValuC+11], v[vgprValuC+11]     // convert C to fp16
v_cvt_f16_f32 v[vgprValuC+12], v[vgprValuC+12]     // convert C to fp16
v_cvt_f16_f32 v[vgprValuC+13], v[vgprValuC+13]     // convert C to fp16
v_cvt_f16_f32 v[vgprValuC+14], v[vgprValuC+14]     // convert C to fp16
v_cvt_f16_f32 v[vgprValuC+15], v[vgprValuC+15]     // convert C to fp16
v_cvt_f16_f32 v[vgprValuC+16], v[vgprValuC+16]     // convert C to fp16
v_cvt_f16_f32 v[vgprValuC+17], v[vgprValuC+17]     // convert C to fp16
v_cvt_f16_f32 v[vgprValuC+18], v[vgprValuC+18]     // convert C to fp16
v_cvt_f16_f32 v[vgprValuC+19], v[vgprValuC+19]     // convert C to fp16
v_cvt_f16_f32 v[vgprValuC+20], v[vgprValuC+20]     // convert C to fp16
v_cvt_f16_f32 v[vgprValuC+21], v[vgprValuC+21]     // convert C to fp16
v_cvt_f16_f32 v[vgprValuC+22], v[vgprValuC+22]     // convert C to fp16
v_cvt_f16_f32 v[vgprValuC+23], v[vgprValuC+23]     // convert C to fp16
v_cvt_f16_f32 v[vgprValuC+24], v[vgprValuC+24]     // convert C to fp16
v_cvt_f16_f32 v[vgprValuC+25], v[vgprValuC+25]     // convert C to fp16
v_cvt_f16_f32 v[vgprValuC+26], v[vgprValuC+26]     // convert C to fp16
v_cvt_f16_f32 v[vgprValuC+27], v[vgprValuC+27]     // convert C to fp16
v_cvt_f16_f32 v[vgprValuC+28], v[vgprValuC+28]     // convert C to fp16
v_cvt_f16_f32 v[vgprValuC+29], v[vgprValuC+29]     // convert C to fp16
v_cvt_f16_f32 v[vgprValuC+30], v[vgprValuC+30]     // convert C to fp16
v_cvt_f16_f32 v[vgprValuC+31], v[vgprValuC+31]     // convert C to fp16
v_cvt_f16_f32 v[vgprValuC+32], v[vgprValuC+32]     // convert C to fp16
v_cvt_f16_f32 v[vgprValuC+33], v[vgprValuC+33]     // convert C to fp16
v_cvt_f16_f32 v[vgprValuC+34], v[vgprValuC+34]     // convert C to fp16
v_cvt_f16_f32 v[vgprValuC+35], v[vgprValuC+35]     // convert C to fp16
v_cvt_f16_f32 v[vgprValuC+36], v[vgprValuC+36]     // convert C to fp16
v_cvt_f16_f32 v[vgprValuC+37], v[vgprValuC+37]     // convert C to fp16
v_cvt_f16_f32 v[vgprValuC+38], v[vgprValuC+38]     // convert C to fp16
v_cvt_f16_f32 v[vgprValuC+39], v[vgprValuC+39]     // convert C to fp16
v_cvt_f16_f32 v[vgprValuC+40], v[vgprValuC+40]     // convert C to fp16
v_cvt_f16_f32 v[vgprValuC+41], v[vgprValuC+41]     // convert C to fp16
v_cvt_f16_f32 v[vgprValuC+42], v[vgprValuC+42]     // convert C to fp16
v_cvt_f16_f32 v[vgprValuC+43], v[vgprValuC+43]     // convert C to fp16
v_cvt_f16_f32 v[vgprValuC+44], v[vgprValuC+44]     // convert C to fp16
v_cvt_f16_f32 v[vgprValuC+45], v[vgprValuC+45]     // convert C to fp16
v_cvt_f16_f32 v[vgprValuC+46], v[vgprValuC+46]     // convert C to fp16
v_cvt_f16_f32 v[vgprValuC+47], v[vgprValuC+47]     // convert C to fp16
v_cvt_f16_f32 v[vgprValuC+48], v[vgprValuC+48]     // convert C to fp16
v_cvt_f16_f32 v[vgprValuC+49], v[vgprValuC+49]     // convert C to fp16
v_cvt_f16_f32 v[vgprValuC+50], v[vgprValuC+50]     // convert C to fp16
v_cvt_f16_f32 v[vgprValuC+51], v[vgprValuC+51]     // convert C to fp16
v_cvt_f16_f32 v[vgprValuC+52], v[vgprValuC+52]     // convert C to fp16
v_cvt_f16_f32 v[vgprValuC+53], v[vgprValuC+53]     // convert C to fp16
v_cvt_f16_f32 v[vgprValuC+54], v[vgprValuC+54]     // convert C to fp16
v_cvt_f16_f32 v[vgprValuC+55], v[vgprValuC+55]     // convert C to fp16
v_cvt_f16_f32 v[vgprValuC+56], v[vgprValuC+56]     // convert C to fp16
v_cvt_f16_f32 v[vgprValuC+57], v[vgprValuC+57]     // convert C to fp16
v_cvt_f16_f32 v[vgprValuC+58], v[vgprValuC+58]     // convert C to fp16
v_cvt_f16_f32 v[vgprValuC+59], v[vgprValuC+59]     // convert C to fp16
v_cvt_f16_f32 v[vgprValuC+60], v[vgprValuC+60]     // convert C to fp16
v_cvt_f16_f32 v[vgprValuC+61], v[vgprValuC+61]     // convert C to fp16
v_cvt_f16_f32 v[vgprValuC+62], v[vgprValuC+62]     // convert C to fp16
v_cvt_f16_f32 v[vgprValuC+63], v[vgprValuC+63]     // convert C to fp16
v_cvt_f16_f32 v[vgprValuC+64], v[vgprValuC+64]     // convert C to fp16
v_cvt_f16_f32 v[vgprValuC+65], v[vgprValuC+65]     // convert C to fp16
v_cvt_f16_f32 v[vgprValuC+66], v[vgprValuC+66]     // convert C to fp16
v_cvt_f16_f32 v[vgprValuC+67], v[vgprValuC+67]     // convert C to fp16
v_cvt_f16_f32 v[vgprValuC+68], v[vgprValuC+68]     // convert C to fp16
v_cvt_f16_f32 v[vgprValuC+69], v[vgprValuC+69]     // convert C to fp16
v_cvt_f16_f32 v[vgprValuC+70], v[vgprValuC+70]     // convert C to fp16
v_cvt_f16_f32 v[vgprValuC+71], v[vgprValuC+71]     // convert C to fp16
v_cvt_f16_f32 v[vgprValuC+72], v[vgprValuC+72]     // convert C to fp16
v_cvt_f16_f32 v[vgprValuC+73], v[vgprValuC+73]     // convert C to fp16
v_cvt_f16_f32 v[vgprValuC+74], v[vgprValuC+74]     // convert C to fp16
v_cvt_f16_f32 v[vgprValuC+75], v[vgprValuC+75]     // convert C to fp16
v_cvt_f16_f32 v[vgprValuC+76], v[vgprValuC+76]     // convert C to fp16
v_cvt_f16_f32 v[vgprValuC+77], v[vgprValuC+77]     // convert C to fp16
v_cvt_f16_f32 v[vgprValuC+78], v[vgprValuC+78]     // convert C to fp16
v_cvt_f16_f32 v[vgprValuC+79], v[vgprValuC+79]     // convert C to fp16
v_cvt_f16_f32 v[vgprValuC+80], v[vgprValuC+80]     // convert C to fp16
v_cvt_f16_f32 v[vgprValuC+81], v[vgprValuC+81]     // convert C to fp16
v_cvt_f16_f32 v[vgprValuC+82], v[vgprValuC+82]     // convert C to fp16
v_cvt_f16_f32 v[vgprValuC+83], v[vgprValuC+83]     // convert C to fp16
v_cvt_f16_f32 v[vgprValuC+84], v[vgprValuC+84]     // convert C to fp16
v_cvt_f16_f32 v[vgprValuC+85], v[vgprValuC+85]     // convert C to fp16
v_cvt_f16_f32 v[vgprValuC+86], v[vgprValuC+86]     // convert C to fp16
v_cvt_f16_f32 v[vgprValuC+87], v[vgprValuC+87]     // convert C to fp16
v_cvt_f16_f32 v[vgprValuC+88], v[vgprValuC+88]     // convert C to fp16
v_cvt_f16_f32 v[vgprValuC+89], v[vgprValuC+89]     // convert C to fp16
v_cvt_f16_f32 v[vgprValuC+90], v[vgprValuC+90]     // convert C to fp16
v_cvt_f16_f32 v[vgprValuC+91], v[vgprValuC+91]     // convert C to fp16
v_cvt_f16_f32 v[vgprValuC+92], v[vgprValuC+92]     // convert C to fp16
v_cvt_f16_f32 v[vgprValuC+93], v[vgprValuC+93]     // convert C to fp16
v_cvt_f16_f32 v[vgprValuC+94], v[vgprValuC+94]     // convert C to fp16
v_cvt_f16_f32 v[vgprValuC+95], v[vgprValuC+95]     // convert C to fp16
v_cvt_f16_f32 v[vgprValuC+96], v[vgprValuC+96]     // convert C to fp16
v_cvt_f16_f32 v[vgprValuC+97], v[vgprValuC+97]     // convert C to fp16
v_cvt_f16_f32 v[vgprValuC+98], v[vgprValuC+98]     // convert C to fp16
v_cvt_f16_f32 v[vgprValuC+99], v[vgprValuC+99]     // convert C to fp16
v_cvt_f16_f32 v[vgprValuC+100], v[vgprValuC+100]   // convert C to fp16
v_cvt_f16_f32 v[vgprValuC+101], v[vgprValuC+101]   // convert C to fp16
	;; [unrolled: 1-line block ×100, first 2 shown]
_buffer_store_b16 v8, v6, s[sgprSrdD:sgprSrdD+3], 0, offen, offset:0,  sc0 sc1 // store D
_buffer_store_b16 v9, v6, s[sgprSrdD:sgprSrdD+3], 0, offen, offset:128,  sc0 sc1 // store D
_buffer_store_b16 v10, v6, s[sgprSrdD:sgprSrdD+3], 0, offen, offset:256,  sc0 sc1 // store D
_buffer_store_b16 v11, v6, s[sgprSrdD:sgprSrdD+3], 0, offen, offset:384,  sc0 sc1 // store D
s_lshl_b32  s52, s[sgprStrideD1J], 1               // incToNextRow: Scale by BPE
s_add_u32  s[sgprSrdD+0], s[sgprSrdD+0], s52       // incToNextRow: gra SRD += inc(lower)
s_addc_u32  s[sgprSrdD+1], s[sgprSrdD+1], 0        // incToNextRow: gra SRD += inc(upper)
_buffer_store_b16 v12, v6, s[sgprSrdD:sgprSrdD+3], 0, offen, offset:0,  sc0 sc1 // store D
_buffer_store_b16 v13, v6, s[sgprSrdD:sgprSrdD+3], 0, offen, offset:128,  sc0 sc1 // store D
_buffer_store_b16 v14, v6, s[sgprSrdD:sgprSrdD+3], 0, offen, offset:256,  sc0 sc1 // store D
_buffer_store_b16 v15, v6, s[sgprSrdD:sgprSrdD+3], 0, offen, offset:384,  sc0 sc1 // store D
s_lshl_b32  s52, s[sgprStrideD1J], 1               // incToNextRow: Scale by BPE
s_add_u32  s[sgprSrdD+0], s[sgprSrdD+0], s52       // incToNextRow: gra SRD += inc(lower)
s_addc_u32  s[sgprSrdD+1], s[sgprSrdD+1], 0        // incToNextRow: gra SRD += inc(upper)
_buffer_store_b16 v16, v6, s[sgprSrdD:sgprSrdD+3], 0, offen, offset:0,  sc0 sc1 // store D
_buffer_store_b16 v17, v6, s[sgprSrdD:sgprSrdD+3], 0, offen, offset:128,  sc0 sc1 // store D
_buffer_store_b16 v18, v6, s[sgprSrdD:sgprSrdD+3], 0, offen, offset:256,  sc0 sc1 // store D
_buffer_store_b16 v19, v6, s[sgprSrdD:sgprSrdD+3], 0, offen, offset:384,  sc0 sc1 // store D
s_lshl_b32  s52, s[sgprStrideD1J], 1               // incToNextRow: Scale by BPE
s_add_u32  s[sgprSrdD+0], s[sgprSrdD+0], s52       // incToNextRow: gra SRD += inc(lower)
s_addc_u32  s[sgprSrdD+1], s[sgprSrdD+1], 0        // incToNextRow: gra SRD += inc(upper)
_buffer_store_b16 v20, v6, s[sgprSrdD:sgprSrdD+3], 0, offen, offset:0,  sc0 sc1 // store D
_buffer_store_b16 v21, v6, s[sgprSrdD:sgprSrdD+3], 0, offen, offset:128,  sc0 sc1 // store D
_buffer_store_b16 v22, v6, s[sgprSrdD:sgprSrdD+3], 0, offen, offset:256,  sc0 sc1 // store D
_buffer_store_b16 v23, v6, s[sgprSrdD:sgprSrdD+3], 0, offen, offset:384,  sc0 sc1 // store D
s_mul_i32 s52, s[sgprStrideD1J], 10                // scale StrideD *= numRows(5) * bpe
s_add_u32  s[sgprSrdD+0], s[sgprSrdD+0], s52       // incToNextRow: gra SRD += inc(lower)
s_addc_u32  s[sgprSrdD+1], s[sgprSrdD+1], 0        // incToNextRow: gra SRD += inc(upper)
_buffer_store_b16 v24, v6, s[sgprSrdD:sgprSrdD+3], 0, offen, offset:0,  sc0 sc1 // store D
_buffer_store_b16 v25, v6, s[sgprSrdD:sgprSrdD+3], 0, offen, offset:128,  sc0 sc1 // store D
_buffer_store_b16 v26, v6, s[sgprSrdD:sgprSrdD+3], 0, offen, offset:256,  sc0 sc1 // store D
_buffer_store_b16 v27, v6, s[sgprSrdD:sgprSrdD+3], 0, offen, offset:384,  sc0 sc1 // store D
s_lshl_b32  s52, s[sgprStrideD1J], 1               // incToNextRow: Scale by BPE
s_add_u32  s[sgprSrdD+0], s[sgprSrdD+0], s52       // incToNextRow: gra SRD += inc(lower)
s_addc_u32  s[sgprSrdD+1], s[sgprSrdD+1], 0        // incToNextRow: gra SRD += inc(upper)
_buffer_store_b16 v28, v6, s[sgprSrdD:sgprSrdD+3], 0, offen, offset:0,  sc0 sc1 // store D
_buffer_store_b16 v29, v6, s[sgprSrdD:sgprSrdD+3], 0, offen, offset:128,  sc0 sc1 // store D
_buffer_store_b16 v30, v6, s[sgprSrdD:sgprSrdD+3], 0, offen, offset:256,  sc0 sc1 // store D
_buffer_store_b16 v31, v6, s[sgprSrdD:sgprSrdD+3], 0, offen, offset:384,  sc0 sc1 // store D
s_lshl_b32  s52, s[sgprStrideD1J], 1               // incToNextRow: Scale by BPE
s_add_u32  s[sgprSrdD+0], s[sgprSrdD+0], s52       // incToNextRow: gra SRD += inc(lower)
s_addc_u32  s[sgprSrdD+1], s[sgprSrdD+1], 0        // incToNextRow: gra SRD += inc(upper)
_buffer_store_b16 v32, v6, s[sgprSrdD:sgprSrdD+3], 0, offen, offset:0,  sc0 sc1 // store D
_buffer_store_b16 v33, v6, s[sgprSrdD:sgprSrdD+3], 0, offen, offset:128,  sc0 sc1 // store D
_buffer_store_b16 v34, v6, s[sgprSrdD:sgprSrdD+3], 0, offen, offset:256,  sc0 sc1 // store D
_buffer_store_b16 v35, v6, s[sgprSrdD:sgprSrdD+3], 0, offen, offset:384,  sc0 sc1 // store D
s_lshl_b32  s52, s[sgprStrideD1J], 1               // incToNextRow: Scale by BPE
s_add_u32  s[sgprSrdD+0], s[sgprSrdD+0], s52       // incToNextRow: gra SRD += inc(lower)
s_addc_u32  s[sgprSrdD+1], s[sgprSrdD+1], 0        // incToNextRow: gra SRD += inc(upper)
_buffer_store_b16 v36, v6, s[sgprSrdD:sgprSrdD+3], 0, offen, offset:0,  sc0 sc1 // store D
_buffer_store_b16 v37, v6, s[sgprSrdD:sgprSrdD+3], 0, offen, offset:128,  sc0 sc1 // store D
_buffer_store_b16 v38, v6, s[sgprSrdD:sgprSrdD+3], 0, offen, offset:256,  sc0 sc1 // store D
_buffer_store_b16 v39, v6, s[sgprSrdD:sgprSrdD+3], 0, offen, offset:384,  sc0 sc1 // store D
s_mul_i32 s52, s[sgprStrideD1J], 10                // scale StrideD *= numRows(5) * bpe
s_add_u32  s[sgprSrdD+0], s[sgprSrdD+0], s52       // incToNextRow: gra SRD += inc(lower)
s_addc_u32  s[sgprSrdD+1], s[sgprSrdD+1], 0        // incToNextRow: gra SRD += inc(upper)
	;; [unrolled: 28-line block ×11, first 2 shown]
_buffer_store_b16 v187, v6, s[sgprSrdD:sgprSrdD+3], 0, offen, offset:0,  sc0 sc1 // store D
_buffer_store_b16 v188, v6, s[sgprSrdD:sgprSrdD+3], 0, offen, offset:128,  sc0 sc1 // store D
_buffer_store_b16 v189, v6, s[sgprSrdD:sgprSrdD+3], 0, offen, offset:256,  sc0 sc1 // store D
_buffer_store_b16 v190, v6, s[sgprSrdD:sgprSrdD+3], 0, offen, offset:384,  sc0 sc1 // store D
s_lshl_b32  s52, s[sgprStrideD1J], 1               // incToNextRow: Scale by BPE
s_add_u32  s[sgprSrdD+0], s[sgprSrdD+0], s52       // incToNextRow: gra SRD += inc(lower)
s_addc_u32  s[sgprSrdD+1], s[sgprSrdD+1], 0        // incToNextRow: gra SRD += inc(upper)
_buffer_store_b16 v191, v6, s[sgprSrdD:sgprSrdD+3], 0, offen, offset:0,  sc0 sc1 // store D
_buffer_store_b16 v192, v6, s[sgprSrdD:sgprSrdD+3], 0, offen, offset:128,  sc0 sc1 // store D
_buffer_store_b16 v193, v6, s[sgprSrdD:sgprSrdD+3], 0, offen, offset:256,  sc0 sc1 // store D
_buffer_store_b16 v194, v6, s[sgprSrdD:sgprSrdD+3], 0, offen, offset:384,  sc0 sc1 // store D
s_lshl_b32  s52, s[sgprStrideD1J], 1               // incToNextRow: Scale by BPE
s_add_u32  s[sgprSrdD+0], s[sgprSrdD+0], s52       // incToNextRow: gra SRD += inc(lower)
s_addc_u32  s[sgprSrdD+1], s[sgprSrdD+1], 0        // incToNextRow: gra SRD += inc(upper)
	;; [unrolled: 7-line block ×3, first 2 shown]
_buffer_store_b16 v199, v6, s[sgprSrdD:sgprSrdD+3], 0, offen, offset:0,  sc0 sc1 // store D
_buffer_store_b16 v200, v6, s[sgprSrdD:sgprSrdD+3], 0, offen, offset:128,  sc0 sc1 // store D
	;; [unrolled: 1-line block ×4, first 2 shown]
s_nop 0                                            // 1 wait state required when next inst writes vgprs held by previous dwordx4 store inst
s_branch label_GW_End_23                           // jump to end
label_GW_End_23:

s_endpgm                                           // Kernel End
OptNLL_End_17:


/******************************************/
/* Ord. NoLoadLoop - Begin                                      */
/******************************************/


	;; [unrolled: 1-line block ×4, first 2 shown]
/* iter 0 (last unrolled loop) */

/*  grEndMfmaIndex:0, lwStartMfmaIndex:83, lwEndMfmaIndex:83  */
/*  numMfmaForLR:11, barrierMfmaIndex:84, LocalWritePerMfma:0.240 */
/*  mfmaIndex:0  */
s_waitcnt lgkmcnt(0)                               // lgkmcnt=0 vmcnt=-1wait for prior local read local write old=0, new=0 newLW=0 newLR=0
v_mfma_f32_32x32x8_f16 a[0+0:15+0], v[vgprValuB_X0_I0+0+0+0:vgprValuB_X0_I0+0+0+0+1], v[vgprValuA_X0_I0+0+0+0:vgprValuA_X0_I0+0+0+0+1], a[0:15]
/*  mfmaIndex:1  */
_ds_load_b128 v[vgprValuA_X2_I0+0:vgprValuA_X2_I0+0+3], v[vgprLocalReadAddrA] offset:32 // L -> Reg lro=16 swapByteOffset=0 ti=64 vIdx=0 rIdx=0 oIdx=0 buffer=2 iui=0
v_mfma_f32_32x32x8_f16 a[16+0:31+0], v[vgprValuB_X0_I0+0+0+0:vgprValuB_X0_I0+0+0+0+1], v[vgprValuA_X0_I0+4+0+0:vgprValuA_X0_I0+4+0+0+1], a[16:31]
/*  mfmaIndex:2  */
_ds_load_b128 v[vgprValuB_X2_I0+0:vgprValuB_X2_I0+0+3], v[vgprLocalReadAddrB] offset:32 // L -> Reg lro=16 swapByteOffset=0 ti=64 vIdx=0 rIdx=0 oIdx=0 buffer=2 iui=0
v_mfma_f32_32x32x8_f16 a[32+0:47+0], v[vgprValuB_X0_I0+0+0+0:vgprValuB_X0_I0+0+0+0+1], v[vgprValuA_X0_I0+8+0+0:vgprValuA_X0_I0+8+0+0+1], a[32:47]
/*  mfmaIndex:3  */
_ds_load_b128 v[vgprValuA_X2_I0+4:vgprValuA_X2_I0+4+3], v[vgprLocalReadAddrA] offset:9248 // L -> Reg lro=16 swapByteOffset=0 ti=64 vIdx=1 rIdx=0 oIdx=0 buffer=2 iui=0
v_mfma_f32_32x32x8_f16 a[48+0:63+0], v[vgprValuB_X0_I0+0+0+0:vgprValuB_X0_I0+0+0+0+1], v[vgprValuA_X0_I0+12+0+0:vgprValuA_X0_I0+12+0+0+1], a[48:63]
/*  mfmaIndex:4  */
_ds_load_b128 v[vgprValuA_X2_I0+8:vgprValuA_X2_I0+8+3], v[vgprLocalReadAddrA] offset:18464 // L -> Reg lro=16 swapByteOffset=0 ti=64 vIdx=2 rIdx=0 oIdx=0 buffer=2 iui=0
	;; [unrolled: 3-line block ×3, first 2 shown]
v_mfma_f32_32x32x8_f16 a[96+0:111+0], v[vgprValuB_X0_I0+4+0+0:vgprValuB_X0_I0+4+0+0+1], v[vgprValuA_X0_I0+8+0+0:vgprValuA_X0_I0+8+0+0+1], a[96:111]
/*  mfmaIndex:6  */
_ds_load_b128 v[vgprValuB_X2_I0+4:vgprValuB_X2_I0+4+3], v[vgprLocalReadAddrB] offset:9248 // L -> Reg lro=16 swapByteOffset=0 ti=64 vIdx=1 rIdx=0 oIdx=0 buffer=2 iui=0
v_mfma_f32_32x32x8_f16 a[80+0:95+0], v[vgprValuB_X0_I0+4+0+0:vgprValuB_X0_I0+4+0+0+1], v[vgprValuA_X0_I0+4+0+0:vgprValuA_X0_I0+4+0+0+1], a[80:95]
/*  mfmaIndex:7  */
_ds_load_b128 v[vgprValuB_X2_I0+8:vgprValuB_X2_I0+8+3], v[vgprLocalReadAddrB] offset:18464 // L -> Reg lro=16 swapByteOffset=0 ti=64 vIdx=2 rIdx=0 oIdx=0 buffer=2 iui=0
/* localReadsVacancy: latencyLeft 2 */
v_mfma_f32_32x32x8_f16 a[64+0:79+0], v[vgprValuB_X0_I0+4+0+0:vgprValuB_X0_I0+4+0+0+1], v[vgprValuA_X0_I0+0+0+0:vgprValuA_X0_I0+0+0+0+1], a[64:79]
/*  mfmaIndex:8  */
/* localReadsVacancy: latencyLeft 6 */
_ds_load_b128 v[vgprValuA_X4_I0+0:vgprValuA_X4_I0+0+3], v[vgprLocalReadAddrA] offset:64 // L -> Reg lro=32 swapByteOffset=0 ti=64 vIdx=0 rIdx=0 oIdx=0 buffer=4 iui=0
v_mfma_f32_32x32x8_f16 a[128+0:143+0], v[vgprValuB_X0_I0+8+0+0:vgprValuB_X0_I0+8+0+0+1], v[vgprValuA_X0_I0+0+0+0:vgprValuA_X0_I0+0+0+0+1], a[128:143]
/*  mfmaIndex:9  */
/* localReadsVacancy: latencyLeft 6 */
_ds_load_b128 v[vgprValuB_X4_I0+0:vgprValuB_X4_I0+0+3], v[vgprLocalReadAddrB] offset:64 // L -> Reg lro=32 swapByteOffset=0 ti=64 vIdx=0 rIdx=0 oIdx=0 buffer=4 iui=0
v_mfma_f32_32x32x8_f16 a[144+0:159+0], v[vgprValuB_X0_I0+8+0+0:vgprValuB_X0_I0+8+0+0+1], v[vgprValuA_X0_I0+4+0+0:vgprValuA_X0_I0+4+0+0+1], a[144:159]
/*  mfmaIndex:10  */
/* localReadsVacancy: latencyLeft 6 */
_ds_load_b128 v[vgprValuA_X4_I0+4:vgprValuA_X4_I0+4+3], v[vgprLocalReadAddrA] offset:9280 // L -> Reg lro=32 swapByteOffset=0 ti=64 vIdx=1 rIdx=0 oIdx=0 buffer=4 iui=0
v_mfma_f32_32x32x8_f16 a[160+0:175+0], v[vgprValuB_X0_I0+8+0+0:vgprValuB_X0_I0+8+0+0+1], v[vgprValuA_X0_I0+8+0+0:vgprValuA_X0_I0+8+0+0+1], a[160:175]
/*  mfmaIndex:11  */
/* localReadsVacancy: latencyLeft 6 */
_ds_load_b128 v[vgprValuA_X4_I0+8:vgprValuA_X4_I0+8+3], v[vgprLocalReadAddrA] offset:18496 // L -> Reg lro=32 swapByteOffset=0 ti=64 vIdx=2 rIdx=0 oIdx=0 buffer=4 iui=0
v_mfma_f32_32x32x8_f16 a[176+0:191+0], v[vgprValuB_X0_I0+8+0+0:vgprValuB_X0_I0+8+0+0+1], v[vgprValuA_X0_I0+12+0+0:vgprValuA_X0_I0+12+0+0+1], a[176:191]
/* numPrefetchIter=0 */
/* dataAtIterA=-1 numReadsIterA=1 skipReadsIterA=1 readsPerIterA=4 */
/* dataAtIterB=-1 numReadsIterB=1 skipReadsIterB=1 readsPerIterB=3 */


/* iter 1 (last unrolled loop) */

/*  grEndMfmaIndex:0, lwStartMfmaIndex:83, lwEndMfmaIndex:83  */
/*  numMfmaForLR:11, barrierMfmaIndex:84, LocalWritePerMfma:0.240 */
/*  mfmaIndex:12  */
_ds_load_b128 v[vgprValuA_X4_I0+12:vgprValuA_X4_I0+12+3], v[vgprLocalReadAddrA] offset:27712 // L -> Reg lro=32 swapByteOffset=0 ti=64 vIdx=3 rIdx=0 oIdx=0 buffer=4 iui=0
s_waitcnt lgkmcnt(12)                              // lgkmcnt=0 vmcnt=-1wait for prior local read local write old=4, new=12 newLW=0 newLR=8
v_mfma_f32_32x32x8_f16 a[0+0:15+0], v[vgprValuB_X0_I0+0+2+0:vgprValuB_X0_I0+0+2+0+1], v[vgprValuA_X0_I0+0+2+0:vgprValuA_X0_I0+0+2+0+1], a[0:15]
/*  mfmaIndex:13  */
_ds_load_b128 v[vgprValuB_X4_I0+4:vgprValuB_X4_I0+4+3], v[vgprLocalReadAddrB] offset:9280 // L -> Reg lro=32 swapByteOffset=0 ti=64 vIdx=1 rIdx=0 oIdx=0 buffer=4 iui=0
v_mfma_f32_32x32x8_f16 a[16+0:31+0], v[vgprValuB_X0_I0+0+2+0:vgprValuB_X0_I0+0+2+0+1], v[vgprValuA_X0_I0+4+2+0:vgprValuA_X0_I0+4+2+0+1], a[16:31]
/*  mfmaIndex:14  */
_ds_load_b128 v[vgprValuB_X4_I0+8:vgprValuB_X4_I0+8+3], v[vgprLocalReadAddrB] offset:18496 // L -> Reg lro=32 swapByteOffset=0 ti=64 vIdx=2 rIdx=0 oIdx=0 buffer=4 iui=0
/* localReadsVacancy: latencyLeft 2 */
v_mfma_f32_32x32x8_f16 a[32+0:47+0], v[vgprValuB_X0_I0+0+2+0:vgprValuB_X0_I0+0+2+0+1], v[vgprValuA_X0_I0+8+2+0:vgprValuA_X0_I0+8+2+0+1], a[32:47]
/*  mfmaIndex:15  */
/* localReadsVacancy: latencyLeft 6 */
_ds_load_b128 v[vgprValuA_X6_I0+0:vgprValuA_X6_I0+0+3], v[vgprLocalReadAddrA] offset:96 // L -> Reg lro=48 swapByteOffset=0 ti=64 vIdx=0 rIdx=0 oIdx=0 buffer=6 iui=0
v_mfma_f32_32x32x8_f16 a[48+0:63+0], v[vgprValuB_X0_I0+0+2+0:vgprValuB_X0_I0+0+2+0+1], v[vgprValuA_X0_I0+12+2+0:vgprValuA_X0_I0+12+2+0+1], a[48:63]
/*  mfmaIndex:16  */
/* localReadsVacancy: latencyLeft 6 */
_ds_load_b128 v[vgprValuB_X6_I0+0:vgprValuB_X6_I0+0+3], v[vgprLocalReadAddrB] offset:96 // L -> Reg lro=48 swapByteOffset=0 ti=64 vIdx=0 rIdx=0 oIdx=0 buffer=6 iui=0
v_mfma_f32_32x32x8_f16 a[112+0:127+0], v[vgprValuB_X0_I0+4+2+0:vgprValuB_X0_I0+4+2+0+1], v[vgprValuA_X0_I0+12+2+0:vgprValuA_X0_I0+12+2+0+1], a[112:127]
/*  mfmaIndex:17  */
/* localReadsVacancy: latencyLeft 6 */
_ds_load_b128 v[vgprValuA_X6_I0+4:vgprValuA_X6_I0+4+3], v[vgprLocalReadAddrA] offset:9312 // L -> Reg lro=48 swapByteOffset=0 ti=64 vIdx=1 rIdx=0 oIdx=0 buffer=6 iui=0
v_mfma_f32_32x32x8_f16 a[96+0:111+0], v[vgprValuB_X0_I0+4+2+0:vgprValuB_X0_I0+4+2+0+1], v[vgprValuA_X0_I0+8+2+0:vgprValuA_X0_I0+8+2+0+1], a[96:111]
/*  mfmaIndex:18  */
/* localReadsVacancy: latencyLeft 6 */
_ds_load_b128 v[vgprValuA_X6_I0+8:vgprValuA_X6_I0+8+3], v[vgprLocalReadAddrA] offset:18528 // L -> Reg lro=48 swapByteOffset=0 ti=64 vIdx=2 rIdx=0 oIdx=0 buffer=6 iui=0
	;; [unrolled: 4-line block ×3, first 2 shown]
v_mfma_f32_32x32x8_f16 a[64+0:79+0], v[vgprValuB_X0_I0+4+2+0:vgprValuB_X0_I0+4+2+0+1], v[vgprValuA_X0_I0+0+2+0:vgprValuA_X0_I0+0+2+0+1], a[64:79]
/*  mfmaIndex:20  */
/* localReadsVacancy: latencyLeft 6 */
_ds_load_b128 v[vgprValuB_X6_I0+4:vgprValuB_X6_I0+4+3], v[vgprLocalReadAddrB] offset:9312 // L -> Reg lro=48 swapByteOffset=0 ti=64 vIdx=1 rIdx=0 oIdx=0 buffer=6 iui=0
v_mfma_f32_32x32x8_f16 a[128+0:143+0], v[vgprValuB_X0_I0+8+2+0:vgprValuB_X0_I0+8+2+0+1], v[vgprValuA_X0_I0+0+2+0:vgprValuA_X0_I0+0+2+0+1], a[128:143]
/*  mfmaIndex:21  */
/* localReadsVacancy: latencyLeft 6 */
_ds_load_b128 v[vgprValuB_X6_I0+8:vgprValuB_X6_I0+8+3], v[vgprLocalReadAddrB] offset:18528 // L -> Reg lro=48 swapByteOffset=0 ti=64 vIdx=2 rIdx=0 oIdx=0 buffer=6 iui=0
v_mfma_f32_32x32x8_f16 a[144+0:159+0], v[vgprValuB_X0_I0+8+2+0:vgprValuB_X0_I0+8+2+0+1], v[vgprValuA_X0_I0+4+2+0:vgprValuA_X0_I0+4+2+0+1], a[144:159]
/*  mfmaIndex:22  */
/* localReadsVacancy: latencyLeft 6 */
v_mfma_f32_32x32x8_f16 a[160+0:175+0], v[vgprValuB_X0_I0+8+2+0:vgprValuB_X0_I0+8+2+0+1], v[vgprValuA_X0_I0+8+2+0:vgprValuA_X0_I0+8+2+0+1], a[160:175]
/*  mfmaIndex:23  */
/* localReadsVacancy: latencyLeft 6 */
v_mfma_f32_32x32x8_f16 a[176+0:191+0], v[vgprValuB_X0_I0+8+2+0:vgprValuB_X0_I0+8+2+0+1], v[vgprValuA_X0_I0+12+2+0:vgprValuA_X0_I0+12+2+0+1], a[176:191]
/* numPrefetchIter=0 */
/* dataAtIterA=-1 numReadsIterA=2 skipReadsIterA=2 readsPerIterA=4 */
/* dataAtIterB=-1 numReadsIterB=2 skipReadsIterB=2 readsPerIterB=3 */


/* iter 2 (last unrolled loop) */

/*  grEndMfmaIndex:0, lwStartMfmaIndex:83, lwEndMfmaIndex:83  */
/*  numMfmaForLR:11, barrierMfmaIndex:84, LocalWritePerMfma:0.240 */
/*  mfmaIndex:24  */
/* localReadsVacancy: latencyLeft 6 */
s_waitcnt lgkmcnt(14)                              // lgkmcnt=0 vmcnt=-1wait for prior local read local write old=7, new=14 newLW=0 newLR=7
v_mfma_f32_32x32x8_f16 a[0+0:15+0], v[vgprValuB_X2_I0+0+0+0:vgprValuB_X2_I0+0+0+0+1], v[vgprValuA_X2_I0+0+0+0:vgprValuA_X2_I0+0+0+0+1], a[0:15]
/*  mfmaIndex:25  */
/* localReadsVacancy: latencyLeft 6 */
v_mfma_f32_32x32x8_f16 a[16+0:31+0], v[vgprValuB_X2_I0+0+0+0:vgprValuB_X2_I0+0+0+0+1], v[vgprValuA_X2_I0+4+0+0:vgprValuA_X2_I0+4+0+0+1], a[16:31]
/*  mfmaIndex:26  */
/* localReadsVacancy: latencyLeft 6 */
	;; [unrolled: 3-line block ×11, first 2 shown]
v_mfma_f32_32x32x8_f16 a[176+0:191+0], v[vgprValuB_X2_I0+8+0+0:vgprValuB_X2_I0+8+0+0+1], v[vgprValuA_X2_I0+12+0+0:vgprValuA_X2_I0+12+0+0+1], a[176:191]
/* numPrefetchIter=0 */
/* dataAtIterA=0 numReadsIterA=3 skipReadsIterA=2 readsPerIterA=4 */
/* dataAtIterB=0 numReadsIterB=3 skipReadsIterB=2 readsPerIterB=3 */


/* iter 3 (last unrolled loop) */

/*  grEndMfmaIndex:0, lwStartMfmaIndex:83, lwEndMfmaIndex:83  */
/*  numMfmaForLR:11, barrierMfmaIndex:84, LocalWritePerMfma:0.240 */
/*  mfmaIndex:36  */
/* localReadsVacancy: latencyLeft 6 */
s_waitcnt lgkmcnt(14)                              // lgkmcnt=0 vmcnt=-1wait for prior local read local write old=0, new=14 newLW=0 newLR=14
v_mfma_f32_32x32x8_f16 a[0+0:15+0], v[vgprValuB_X2_I0+0+2+0:vgprValuB_X2_I0+0+2+0+1], v[vgprValuA_X2_I0+0+2+0:vgprValuA_X2_I0+0+2+0+1], a[0:15]
/*  mfmaIndex:37  */
/* localReadsVacancy: latencyLeft 6 */
v_mfma_f32_32x32x8_f16 a[16+0:31+0], v[vgprValuB_X2_I0+0+2+0:vgprValuB_X2_I0+0+2+0+1], v[vgprValuA_X2_I0+4+2+0:vgprValuA_X2_I0+4+2+0+1], a[16:31]
/*  mfmaIndex:38  */
/* localReadsVacancy: latencyLeft 6 */
	;; [unrolled: 3-line block ×11, first 2 shown]
v_mfma_f32_32x32x8_f16 a[176+0:191+0], v[vgprValuB_X2_I0+8+2+0:vgprValuB_X2_I0+8+2+0+1], v[vgprValuA_X2_I0+12+2+0:vgprValuA_X2_I0+12+2+0+1], a[176:191]
/* numPrefetchIter=0 */
/* dataAtIterA=0 numReadsIterA=3 skipReadsIterA=2 readsPerIterA=4 */
/* dataAtIterB=0 numReadsIterB=3 skipReadsIterB=2 readsPerIterB=3 */


/* iter 4 (last unrolled loop) */

/*  grEndMfmaIndex:0, lwStartMfmaIndex:83, lwEndMfmaIndex:83  */
/*  numMfmaForLR:11, barrierMfmaIndex:84, LocalWritePerMfma:0.240 */
/*  mfmaIndex:48  */
/* localReadsVacancy: latencyLeft 6 */
s_waitcnt lgkmcnt(7)                               // lgkmcnt=0 vmcnt=-1wait for prior local read local write old=0, new=7 newLW=0 newLR=7
v_mfma_f32_32x32x8_f16 a[0+0:15+0], v[vgprValuB_X4_I0+0+0+0:vgprValuB_X4_I0+0+0+0+1], v[vgprValuA_X4_I0+0+0+0:vgprValuA_X4_I0+0+0+0+1], a[0:15]
/*  mfmaIndex:49  */
/* localReadsVacancy: latencyLeft 6 */
v_mfma_f32_32x32x8_f16 a[16+0:31+0], v[vgprValuB_X4_I0+0+0+0:vgprValuB_X4_I0+0+0+0+1], v[vgprValuA_X4_I0+4+0+0:vgprValuA_X4_I0+4+0+0+1], a[16:31]
/*  mfmaIndex:50  */
/* localReadsVacancy: latencyLeft 6 */
	;; [unrolled: 3-line block ×11, first 2 shown]
v_mfma_f32_32x32x8_f16 a[176+0:191+0], v[vgprValuB_X4_I0+8+0+0:vgprValuB_X4_I0+8+0+0+1], v[vgprValuA_X4_I0+12+0+0:vgprValuA_X4_I0+12+0+0+1], a[176:191]
/* numPrefetchIter=0 */
/* dataAtIterA=1 numReadsIterA=3 skipReadsIterA=1 readsPerIterA=4 */
/* dataAtIterB=1 numReadsIterB=3 skipReadsIterB=1 readsPerIterB=3 */


/* iter 5 (last unrolled loop) */

/*  grEndMfmaIndex:0, lwStartMfmaIndex:83, lwEndMfmaIndex:83  */
/*  numMfmaForLR:11, barrierMfmaIndex:84, LocalWritePerMfma:0.240 */
/*  mfmaIndex:60  */
/* localReadsVacancy: latencyLeft 6 */
s_waitcnt lgkmcnt(7)                               // lgkmcnt=0 vmcnt=-1wait for prior local read local write old=0, new=7 newLW=0 newLR=7
v_mfma_f32_32x32x8_f16 a[0+0:15+0], v[vgprValuB_X4_I0+0+2+0:vgprValuB_X4_I0+0+2+0+1], v[vgprValuA_X4_I0+0+2+0:vgprValuA_X4_I0+0+2+0+1], a[0:15]
/*  mfmaIndex:61  */
/* localReadsVacancy: latencyLeft 6 */
v_mfma_f32_32x32x8_f16 a[16+0:31+0], v[vgprValuB_X4_I0+0+2+0:vgprValuB_X4_I0+0+2+0+1], v[vgprValuA_X4_I0+4+2+0:vgprValuA_X4_I0+4+2+0+1], a[16:31]
/*  mfmaIndex:62  */
/* localReadsVacancy: latencyLeft 6 */
	;; [unrolled: 3-line block ×11, first 2 shown]
v_mfma_f32_32x32x8_f16 a[176+0:191+0], v[vgprValuB_X4_I0+8+2+0:vgprValuB_X4_I0+8+2+0+1], v[vgprValuA_X4_I0+12+2+0:vgprValuA_X4_I0+12+2+0+1], a[176:191]
/* numPrefetchIter=0 */
/* dataAtIterA=1 numReadsIterA=3 skipReadsIterA=1 readsPerIterA=4 */
/* dataAtIterB=1 numReadsIterB=3 skipReadsIterB=1 readsPerIterB=3 */


/* iter 6 (last unrolled loop) */

/*  grEndMfmaIndex:0, lwStartMfmaIndex:83, lwEndMfmaIndex:83  */
/*  numMfmaForLR:11, barrierMfmaIndex:84, LocalWritePerMfma:0.240 */
/*  mfmaIndex:72  */
/* localReadsVacancy: latencyLeft 6 */
s_waitcnt lgkmcnt(0)                               // lgkmcnt=0 vmcnt=-1wait for prior local read local write old=0, new=0 newLW=0 newLR=0
v_mfma_f32_32x32x8_f16 a[0+0:15+0], v[vgprValuB_X6_I0+0+0+0:vgprValuB_X6_I0+0+0+0+1], v[vgprValuA_X6_I0+0+0+0:vgprValuA_X6_I0+0+0+0+1], a[0:15]
/*  mfmaIndex:73  */
/* localReadsVacancy: latencyLeft 6 */
v_mfma_f32_32x32x8_f16 a[16+0:31+0], v[vgprValuB_X6_I0+0+0+0:vgprValuB_X6_I0+0+0+0+1], v[vgprValuA_X6_I0+4+0+0:vgprValuA_X6_I0+4+0+0+1], a[16:31]
/*  mfmaIndex:74  */
/* localReadsVacancy: latencyLeft 6 */
	;; [unrolled: 3-line block ×10, first 2 shown]
/* 1 LDS buffer: read-sync-write */
s_waitcnt lgkmcnt(0)                               // 
s_barrier                                          // 
v_mfma_f32_32x32x8_f16 a[160+0:175+0], v[vgprValuB_X6_I0+8+0+0:vgprValuB_X6_I0+8+0+0+1], v[vgprValuA_X6_I0+8+0+0:vgprValuA_X6_I0+8+0+0+1], a[160:175]
/*  mfmaIndex:83  */
/* localReadsVacancy: latencyLeft 6 */
v_mfma_f32_32x32x8_f16 a[176+0:191+0], v[vgprValuB_X6_I0+8+0+0:vgprValuB_X6_I0+8+0+0+1], v[vgprValuA_X6_I0+12+0+0:vgprValuA_X6_I0+12+0+0+1], a[176:191]
/* numPrefetchIter=0 */
/* dataAtIterA=2 numReadsIterA=3 skipReadsIterA=0 readsPerIterA=4 */
/* dataAtIterB=2 numReadsIterB=3 skipReadsIterB=0 readsPerIterB=3 */


/* iter 7 (last unrolled loop) */

/*  grEndMfmaIndex:0, lwStartMfmaIndex:83, lwEndMfmaIndex:83  */
/*  numMfmaForLR:11, barrierMfmaIndex:84, LocalWritePerMfma:0.240 */
/*  mfmaIndex:84  */
v_mfma_f32_32x32x8_f16 a[0+0:15+0], v[vgprValuB_X6_I0+0+2+0:vgprValuB_X6_I0+0+2+0+1], v[vgprValuA_X6_I0+0+2+0:vgprValuA_X6_I0+0+2+0+1], a[0:15]
/*  mfmaIndex:85  */
v_mfma_f32_32x32x8_f16 a[16+0:31+0], v[vgprValuB_X6_I0+0+2+0:vgprValuB_X6_I0+0+2+0+1], v[vgprValuA_X6_I0+4+2+0:vgprValuA_X6_I0+4+2+0+1], a[16:31]
	;; [unrolled: 2-line block ×12, first 2 shown]

PrefetchGlobalLastIterEnd_5:

Summation_End_28:
/* endSummation: add vgpr [0...172) to pool */
.set NumFullBlocks, UNDEF
.set WgmRemainder1, UNDEF
.set MagicNumberWgmRemainder1, UNDEF
.set ScalarGlobalReadOffsetA, UNDEF

/* Mapping of Acc register -> C Vgpr register */


	;; [unrolled: 1-line block ×3, first 2 shown]
/* not-LocalSplitU: global write indices */

/* computeStoreVgprs */
v_lshrrev_b32 v4, 6, v[vgprSerial]                 // v4 = v[vgprSerial] / 64
v_and_b32 v1, 63, v[vgprSerial]                    // v1 = v[vgprSerial] % 64
v_lshrrev_b32 v1, 5, v1                            // v1 = v1 / 32
v_lshlrev_b32 v1, 0x2, v1                          // thread0 * continuous_output
v_lshrrev_b32 v5, 1, v4                            // v5 = v4 / 2
v_mul_lo_u32 v5, 0x20, v5                          // wave coordination offset 1
_v_add_lshl_u32 v1, v5, v1, 0                      // coordination 1 = vwb *(wave_id1 + tid1)
v_mul_lo_u32 v2, v1, s[sgprStrideC1J]              //  offset 1
v_mul_lo_u32 v3, v1, s[sgprStrideD1J]              //  offset 1
v_and_b32 v5, 1, v4                                // v5 = v4 % 2
v_mul_lo_u32 v5, 0x20, v5                          // wave coordination offset 0
v_and_b32 v0, 31, v[vgprSerial]                    // v0 = v[vgprSerial] % 32
_v_add_lshl_u32 v0, v5, v0, 0                      // coordination 0 = vwa *(wave_id0 + tid0)
s_mul_i32 s52, 256, s[sgprWorkGroup0]              // wgp0 * MT0
_v_add_u32 v0, s52, v0                             // coord 0 = (tid0/MI_m)*4 + waveG0*MIB_m + MT0*SG0
s_mul_i32 s52, 192, s[sgprWorkGroup1]              // wgp1 * MT1
_v_add_u32 v1, s52, v1                             // coord 1 = (tid0%MI_m) + waveG1*MIB_n + MT1*SG1


/* not-LocalSplitU: global write */

s_cmpk_eq_u32 s[sgprBeta], 0x0                     // Beta == 0
s_cbranch_scc0 GW_Beta_43                          // Branch if Beta is not zero

s_and_b32 s52, 255, s[sgprSizeI]                   // s52 = s[sgprSizeI] % 256
s_add_u32 s53, -0x1, s[sgprNumWorkGroups0]         // 
s_cmp_ge_u32 s[sgprWorkGroup0], s53                // wg0 >= nwg0-1 ?
s_cselect_b32 s52, s52, 0                          // set rMT0
s_cmpk_gt_u32 s52, 0x0                             // rMT0 > 0
s_cbranch_scc1 GW_B0_E1_34                         // jump if edges required
s_mov_b32 s55, 0x0                                 // STATIC_DIV: divisior=192
s_mul_i32 s54, 0x2aa, s[sgprSizeJ]                 // tmp1 = dividend * magic hi
s_lshl_b64 s[54:55], s[54:55], 0x10                // left shift 16 bits
s_mul_i32 s53, s[sgprSizeJ], 0xaaab                // tmp0 = dividend * magic lo
s_add_u32 s54, s53, s54                            // add lo
s_addc_u32 s55, s55, 0x0                           // add hi
s_lshr_b64 s[54:55], s[54:55], 0x21                // tmp1 = (dividend * magic) << shift
s_mov_b32 s53, s54                                 // quotient
s_mul_i32 s54, s53, 0xc0                           // quotient*divisor
s_sub_u32 s52, s[sgprSizeJ], s54                   // rReg = dividend - quotient*divisor
s_add_u32 s53, -0x1, s[sgprNumWorkGroups1]         // 
s_cmp_ge_u32 s[sgprWorkGroup1], s53                // wg1 >= nwg1-1
s_cselect_b32 s52, s52, 0                          // set rMT1
s_cmpk_gt_u32 s52, 0x0                             // rMT1 > 0
s_cbranch_scc1 GW_B0_E1_34                         // jump if edges required
GW_B0_E0_31:

/* edge=0, allocate 2 sgpr. perBatchTmpS=2 perBatchMaskS=0 perElementMaskS=0 elementsPerBatch=244 */
/* optSingleColVgpr=1 optSharedColVgpr=0 optSGPRUsage=BufferLoad_Mask optSrdIncForRow=1 */
s_sleep 3 // optimization: sync and wait
s_barrier

/******************************************/
/* Global Write Alpha Batch #0 (d1,d0,vc1,vc0) = */
/*    (0,0,0,0:vw1); (0,1,0,0:vw1); (0,2,0,0:vw1); (0,3,0,0:vw1); (0,0,1,0:vw1); (0,1,1,0:vw1); (0,2,1,0:vw1); (0,3,1,0:vw1); (0,0,2,0:vw1); (0,1,2,0:vw1); (0,2,2,0:vw1); (0,3,2,0:vw1); (0,0,3,0:vw1); (0,1,3,0:vw1); (0,2,3,0:vw1); (0,3,3,0:vw1); (1,0,0,0:vw1); (1,1,0,0:vw1); (1,2,0,0:vw1); (1,3,0,0:vw1); (1,0,1,0:vw1); (1,1,1,0:vw1); (1,2,1,0:vw1); (1,3,1,0:vw1); (1,0,2,0:vw1); (1,1,2,0:vw1); (1,2,2,0:vw1); (1,3,2,0:vw1); (1,0,3,0:vw1); (1,1,3,0:vw1); (1,2,3,0:vw1); (1,3,3,0:vw1); (2,0,0,0:vw1); (2,1,0,0:vw1); (2,2,0,0:vw1); (2,3,0,0:vw1); (2,0,1,0:vw1); (2,1,1,0:vw1); (2,2,1,0:vw1); (2,3,1,0:vw1); (2,0,2,0:vw1); (2,1,2,0:vw1); (2,2,2,0:vw1); (2,3,2,0:vw1); (2,0,3,0:vw1); (2,1,3,0:vw1); (2,2,3,0:vw1); (2,3,3,0:vw1); (3,0,0,0:vw1); (3,1,0,0:vw1); (3,2,0,0:vw1); (3,3,0,0:vw1); (3,0,1,0:vw1); (3,1,1,0:vw1); (3,2,1,0:vw1); (3,3,1,0:vw1); (3,0,2,0:vw1); (3,1,2,0:vw1); (3,2,2,0:vw1); (3,3,2,0:vw1); (3,0,3,0:vw1); (3,1,3,0:vw1); (3,2,3,0:vw1); (3,3,3,0:vw1); (4,0,0,0:vw1); (4,1,0,0:vw1); (4,2,0,0:vw1); (4,3,0,0:vw1); (4,0,1,0:vw1); (4,1,1,0:vw1); (4,2,1,0:vw1); (4,3,1,0:vw1); (4,0,2,0:vw1); (4,1,2,0:vw1); (4,2,2,0:vw1); (4,3,2,0:vw1); (4,0,3,0:vw1); (4,1,3,0:vw1); (4,2,3,0:vw1); (4,3,3,0:vw1); (5,0,0,0:vw1); (5,1,0,0:vw1); (5,2,0,0:vw1); (5,3,0,0:vw1); (5,0,1,0:vw1); (5,1,1,0:vw1); (5,2,1,0:vw1); (5,3,1,0:vw1); (5,0,2,0:vw1); (5,1,2,0:vw1); (5,2,2,0:vw1); (5,3,2,0:vw1); (5,0,3,0:vw1); (5,1,3,0:vw1); (5,2,3,0:vw1); (5,3,3,0:vw1); (6,0,0,0:vw1); (6,1,0,0:vw1); (6,2,0,0:vw1); (6,3,0,0:vw1); (6,0,1,0:vw1); (6,1,1,0:vw1); (6,2,1,0:vw1); (6,3,1,0:vw1); (6,0,2,0:vw1); (6,1,2,0:vw1); (6,2,2,0:vw1); (6,3,2,0:vw1); (6,0,3,0:vw1); (6,1,3,0:vw1); (6,2,3,0:vw1); (6,3,3,0:vw1); (7,0,0,0:vw1); (7,1,0,0:vw1); (7,2,0,0:vw1); (7,3,0,0:vw1); (7,0,1,0:vw1); (7,1,1,0:vw1); (7,2,1,0:vw1); (7,3,1,0:vw1); (7,0,2,0:vw1); (7,1,2,0:vw1); (7,2,2,0:vw1); (7,3,2,0:vw1); (7,0,3,0:vw1); (7,1,3,0:vw1); (7,2,3,0:vw1); (7,3,3,0:vw1); (8,0,0,0:vw1); (8,1,0,0:vw1); (8,2,0,0:vw1); (8,3,0,0:vw1); (8,0,1,0:vw1); (8,1,1,0:vw1); (8,2,1,0:vw1); (8,3,1,0:vw1); (8,0,2,0:vw1); (8,1,2,0:vw1); (8,2,2,0:vw1); (8,3,2,0:vw1); (8,0,3,0:vw1); (8,1,3,0:vw1); (8,2,3,0:vw1); (8,3,3,0:vw1); (9,0,0,0:vw1); (9,1,0,0:vw1); (9,2,0,0:vw1); (9,3,0,0:vw1); (9,0,1,0:vw1); (9,1,1,0:vw1); (9,2,1,0:vw1); (9,3,1,0:vw1); (9,0,2,0:vw1); (9,1,2,0:vw1); (9,2,2,0:vw1); (9,3,2,0:vw1); (9,0,3,0:vw1); (9,1,3,0:vw1); (9,2,3,0:vw1); (9,3,3,0:vw1); (10,0,0,0:vw1); (10,1,0,0:vw1); (10,2,0,0:vw1); (10,3,0,0:vw1); (10,0,1,0:vw1); (10,1,1,0:vw1); (10,2,1,0:vw1); (10,3,1,0:vw1); (10,0,2,0:vw1); (10,1,2,0:vw1); (10,2,2,0:vw1); (10,3,2,0:vw1); (10,0,3,0:vw1); (10,1,3,0:vw1); (10,2,3,0:vw1); (10,3,3,0:vw1); (11,0,0,0:vw1); (11,1,0,0:vw1); (11,2,0,0:vw1); (11,3,0,0:vw1); (11,0,1,0:vw1); (11,1,1,0:vw1); (11,2,1,0:vw1); (11,3,1,0:vw1); (11,0,2,0:vw1); (11,1,2,0:vw1); (11,2,2,0:vw1); (11,3,2,0:vw1); (11,0,3,0:vw1); (11,1,3,0:vw1); (11,2,3,0:vw1); (11,3,3,0:vw1) */
/******************************************/

/* calc coords, apply mask, and issue loads (if necessary) */
/* (d1,vc1,d0,vc0)=(0,0,0,0) */
/* (d1,vc1,d0,vc0)=(0,0,1,0) */
	;; [unrolled: 1-line block ×192, first 2 shown]
_v_add_lshl_u32 v6, v3, v0, 0x1                    // optSingleColVgpr scaleToBpe: sharedAddrVgpr <- cinRowPtr + coord0, scaled by BPE. BSHERE:coord0=0, coord0Vgpr=0
v_accvgpr_read_b32 v[vgprValuC+8], acc0 // copy acc to vreg[0]
v_accvgpr_read_b32 v[vgprValuC+9], acc16 // copy acc to vreg[1]
v_accvgpr_read_b32 v[vgprValuC+10], acc32 // copy acc to vreg[2]
v_accvgpr_read_b32 v[vgprValuC+11], acc48 // copy acc to vreg[3]
v_accvgpr_read_b32 v[vgprValuC+12], acc1 // copy acc to vreg[4]
v_accvgpr_read_b32 v[vgprValuC+13], acc17 // copy acc to vreg[5]
v_accvgpr_read_b32 v[vgprValuC+14], acc33 // copy acc to vreg[6]
v_accvgpr_read_b32 v[vgprValuC+15], acc49 // copy acc to vreg[7]
v_accvgpr_read_b32 v[vgprValuC+16], acc2 // copy acc to vreg[8]
v_accvgpr_read_b32 v[vgprValuC+17], acc18 // copy acc to vreg[9]
v_accvgpr_read_b32 v[vgprValuC+18], acc34 // copy acc to vreg[10]
v_accvgpr_read_b32 v[vgprValuC+19], acc50 // copy acc to vreg[11]
v_accvgpr_read_b32 v[vgprValuC+20], acc3 // copy acc to vreg[12]
v_accvgpr_read_b32 v[vgprValuC+21], acc19 // copy acc to vreg[13]
v_accvgpr_read_b32 v[vgprValuC+22], acc35 // copy acc to vreg[14]
v_accvgpr_read_b32 v[vgprValuC+23], acc51 // copy acc to vreg[15]
v_accvgpr_read_b32 v[vgprValuC+24], acc4 // copy acc to vreg[16]
v_accvgpr_read_b32 v[vgprValuC+25], acc20 // copy acc to vreg[17]
v_accvgpr_read_b32 v[vgprValuC+26], acc36 // copy acc to vreg[18]
v_accvgpr_read_b32 v[vgprValuC+27], acc52 // copy acc to vreg[19]
v_accvgpr_read_b32 v[vgprValuC+28], acc5 // copy acc to vreg[20]
v_accvgpr_read_b32 v[vgprValuC+29], acc21 // copy acc to vreg[21]
v_accvgpr_read_b32 v[vgprValuC+30], acc37 // copy acc to vreg[22]
v_accvgpr_read_b32 v[vgprValuC+31], acc53 // copy acc to vreg[23]
v_accvgpr_read_b32 v[vgprValuC+32], acc6 // copy acc to vreg[24]
v_accvgpr_read_b32 v[vgprValuC+33], acc22 // copy acc to vreg[25]
v_accvgpr_read_b32 v[vgprValuC+34], acc38 // copy acc to vreg[26]
v_accvgpr_read_b32 v[vgprValuC+35], acc54 // copy acc to vreg[27]
v_accvgpr_read_b32 v[vgprValuC+36], acc7 // copy acc to vreg[28]
v_accvgpr_read_b32 v[vgprValuC+37], acc23 // copy acc to vreg[29]
v_accvgpr_read_b32 v[vgprValuC+38], acc39 // copy acc to vreg[30]
v_accvgpr_read_b32 v[vgprValuC+39], acc55 // copy acc to vreg[31]
v_accvgpr_read_b32 v[vgprValuC+40], acc8 // copy acc to vreg[32]
v_accvgpr_read_b32 v[vgprValuC+41], acc24 // copy acc to vreg[33]
v_accvgpr_read_b32 v[vgprValuC+42], acc40 // copy acc to vreg[34]
v_accvgpr_read_b32 v[vgprValuC+43], acc56 // copy acc to vreg[35]
v_accvgpr_read_b32 v[vgprValuC+44], acc9 // copy acc to vreg[36]
v_accvgpr_read_b32 v[vgprValuC+45], acc25 // copy acc to vreg[37]
v_accvgpr_read_b32 v[vgprValuC+46], acc41 // copy acc to vreg[38]
v_accvgpr_read_b32 v[vgprValuC+47], acc57 // copy acc to vreg[39]
v_accvgpr_read_b32 v[vgprValuC+48], acc10 // copy acc to vreg[40]
v_accvgpr_read_b32 v[vgprValuC+49], acc26 // copy acc to vreg[41]
v_accvgpr_read_b32 v[vgprValuC+50], acc42 // copy acc to vreg[42]
v_accvgpr_read_b32 v[vgprValuC+51], acc58 // copy acc to vreg[43]
v_accvgpr_read_b32 v[vgprValuC+52], acc11 // copy acc to vreg[44]
v_accvgpr_read_b32 v[vgprValuC+53], acc27 // copy acc to vreg[45]
v_accvgpr_read_b32 v[vgprValuC+54], acc43 // copy acc to vreg[46]
v_accvgpr_read_b32 v[vgprValuC+55], acc59 // copy acc to vreg[47]
v_accvgpr_read_b32 v[vgprValuC+56], acc12 // copy acc to vreg[48]
v_accvgpr_read_b32 v[vgprValuC+57], acc28 // copy acc to vreg[49]
v_accvgpr_read_b32 v[vgprValuC+58], acc44 // copy acc to vreg[50]
v_accvgpr_read_b32 v[vgprValuC+59], acc60 // copy acc to vreg[51]
v_accvgpr_read_b32 v[vgprValuC+60], acc13 // copy acc to vreg[52]
v_accvgpr_read_b32 v[vgprValuC+61], acc29 // copy acc to vreg[53]
v_accvgpr_read_b32 v[vgprValuC+62], acc45 // copy acc to vreg[54]
v_accvgpr_read_b32 v[vgprValuC+63], acc61 // copy acc to vreg[55]
v_accvgpr_read_b32 v[vgprValuC+64], acc14 // copy acc to vreg[56]
v_accvgpr_read_b32 v[vgprValuC+65], acc30 // copy acc to vreg[57]
v_accvgpr_read_b32 v[vgprValuC+66], acc46 // copy acc to vreg[58]
v_accvgpr_read_b32 v[vgprValuC+67], acc62 // copy acc to vreg[59]
v_accvgpr_read_b32 v[vgprValuC+68], acc15 // copy acc to vreg[60]
v_accvgpr_read_b32 v[vgprValuC+69], acc31 // copy acc to vreg[61]
v_accvgpr_read_b32 v[vgprValuC+70], acc47 // copy acc to vreg[62]
v_accvgpr_read_b32 v[vgprValuC+71], acc63 // copy acc to vreg[63]
v_accvgpr_read_b32 v[vgprValuC+72], acc64 // copy acc to vreg[64]
v_accvgpr_read_b32 v[vgprValuC+73], acc80 // copy acc to vreg[65]
v_accvgpr_read_b32 v[vgprValuC+74], acc96 // copy acc to vreg[66]
v_accvgpr_read_b32 v[vgprValuC+75], acc112 // copy acc to vreg[67]
v_accvgpr_read_b32 v[vgprValuC+76], acc65 // copy acc to vreg[68]
v_accvgpr_read_b32 v[vgprValuC+77], acc81 // copy acc to vreg[69]
v_accvgpr_read_b32 v[vgprValuC+78], acc97 // copy acc to vreg[70]
v_accvgpr_read_b32 v[vgprValuC+79], acc113 // copy acc to vreg[71]
v_accvgpr_read_b32 v[vgprValuC+80], acc66 // copy acc to vreg[72]
v_accvgpr_read_b32 v[vgprValuC+81], acc82 // copy acc to vreg[73]
v_accvgpr_read_b32 v[vgprValuC+82], acc98 // copy acc to vreg[74]
v_accvgpr_read_b32 v[vgprValuC+83], acc114 // copy acc to vreg[75]
v_accvgpr_read_b32 v[vgprValuC+84], acc67 // copy acc to vreg[76]
v_accvgpr_read_b32 v[vgprValuC+85], acc83 // copy acc to vreg[77]
v_accvgpr_read_b32 v[vgprValuC+86], acc99 // copy acc to vreg[78]
v_accvgpr_read_b32 v[vgprValuC+87], acc115 // copy acc to vreg[79]
v_accvgpr_read_b32 v[vgprValuC+88], acc68 // copy acc to vreg[80]
v_accvgpr_read_b32 v[vgprValuC+89], acc84 // copy acc to vreg[81]
v_accvgpr_read_b32 v[vgprValuC+90], acc100 // copy acc to vreg[82]
v_accvgpr_read_b32 v[vgprValuC+91], acc116 // copy acc to vreg[83]
v_accvgpr_read_b32 v[vgprValuC+92], acc69 // copy acc to vreg[84]
v_accvgpr_read_b32 v[vgprValuC+93], acc85 // copy acc to vreg[85]
v_accvgpr_read_b32 v[vgprValuC+94], acc101 // copy acc to vreg[86]
v_accvgpr_read_b32 v[vgprValuC+95], acc117 // copy acc to vreg[87]
v_accvgpr_read_b32 v[vgprValuC+96], acc70 // copy acc to vreg[88]
v_accvgpr_read_b32 v[vgprValuC+97], acc86 // copy acc to vreg[89]
v_accvgpr_read_b32 v[vgprValuC+98], acc102 // copy acc to vreg[90]
v_accvgpr_read_b32 v[vgprValuC+99], acc118 // copy acc to vreg[91]
v_accvgpr_read_b32 v[vgprValuC+100], acc71 // copy acc to vreg[92]
v_accvgpr_read_b32 v[vgprValuC+101], acc87 // copy acc to vreg[93]
v_accvgpr_read_b32 v[vgprValuC+102], acc103 // copy acc to vreg[94]
v_accvgpr_read_b32 v[vgprValuC+103], acc119 // copy acc to vreg[95]
v_accvgpr_read_b32 v[vgprValuC+104], acc72 // copy acc to vreg[96]
v_accvgpr_read_b32 v[vgprValuC+105], acc88 // copy acc to vreg[97]
v_accvgpr_read_b32 v[vgprValuC+106], acc104 // copy acc to vreg[98]
v_accvgpr_read_b32 v[vgprValuC+107], acc120 // copy acc to vreg[99]
v_accvgpr_read_b32 v[vgprValuC+108], acc73 // copy acc to vreg[100]
v_accvgpr_read_b32 v[vgprValuC+109], acc89 // copy acc to vreg[101]
v_accvgpr_read_b32 v[vgprValuC+110], acc105 // copy acc to vreg[102]
v_accvgpr_read_b32 v[vgprValuC+111], acc121 // copy acc to vreg[103]
v_accvgpr_read_b32 v[vgprValuC+112], acc74 // copy acc to vreg[104]
v_accvgpr_read_b32 v[vgprValuC+113], acc90 // copy acc to vreg[105]
v_accvgpr_read_b32 v[vgprValuC+114], acc106 // copy acc to vreg[106]
v_accvgpr_read_b32 v[vgprValuC+115], acc122 // copy acc to vreg[107]
v_accvgpr_read_b32 v[vgprValuC+116], acc75 // copy acc to vreg[108]
v_accvgpr_read_b32 v[vgprValuC+117], acc91 // copy acc to vreg[109]
v_accvgpr_read_b32 v[vgprValuC+118], acc107 // copy acc to vreg[110]
v_accvgpr_read_b32 v[vgprValuC+119], acc123 // copy acc to vreg[111]
v_accvgpr_read_b32 v[vgprValuC+120], acc76 // copy acc to vreg[112]
v_accvgpr_read_b32 v[vgprValuC+121], acc92 // copy acc to vreg[113]
v_accvgpr_read_b32 v[vgprValuC+122], acc108 // copy acc to vreg[114]
v_accvgpr_read_b32 v[vgprValuC+123], acc124 // copy acc to vreg[115]
v_accvgpr_read_b32 v[vgprValuC+124], acc77 // copy acc to vreg[116]
v_accvgpr_read_b32 v[vgprValuC+125], acc93 // copy acc to vreg[117]
v_accvgpr_read_b32 v[vgprValuC+126], acc109 // copy acc to vreg[118]
v_accvgpr_read_b32 v[vgprValuC+127], acc125 // copy acc to vreg[119]
v_accvgpr_read_b32 v[vgprValuC+128], acc78 // copy acc to vreg[120]
v_accvgpr_read_b32 v[vgprValuC+129], acc94 // copy acc to vreg[121]
v_accvgpr_read_b32 v[vgprValuC+130], acc110 // copy acc to vreg[122]
v_accvgpr_read_b32 v[vgprValuC+131], acc126 // copy acc to vreg[123]
v_accvgpr_read_b32 v[vgprValuC+132], acc79 // copy acc to vreg[124]
v_accvgpr_read_b32 v[vgprValuC+133], acc95 // copy acc to vreg[125]
v_accvgpr_read_b32 v[vgprValuC+134], acc111 // copy acc to vreg[126]
v_accvgpr_read_b32 v[vgprValuC+135], acc127 // copy acc to vreg[127]
v_accvgpr_read_b32 v[vgprValuC+136], acc128 // copy acc to vreg[128]
v_accvgpr_read_b32 v[vgprValuC+137], acc144 // copy acc to vreg[129]
v_accvgpr_read_b32 v[vgprValuC+138], acc160 // copy acc to vreg[130]
v_accvgpr_read_b32 v[vgprValuC+139], acc176 // copy acc to vreg[131]
v_accvgpr_read_b32 v[vgprValuC+140], acc129 // copy acc to vreg[132]
v_accvgpr_read_b32 v[vgprValuC+141], acc145 // copy acc to vreg[133]
v_accvgpr_read_b32 v[vgprValuC+142], acc161 // copy acc to vreg[134]
v_accvgpr_read_b32 v[vgprValuC+143], acc177 // copy acc to vreg[135]
v_accvgpr_read_b32 v[vgprValuC+144], acc130 // copy acc to vreg[136]
v_accvgpr_read_b32 v[vgprValuC+145], acc146 // copy acc to vreg[137]
v_accvgpr_read_b32 v[vgprValuC+146], acc162 // copy acc to vreg[138]
v_accvgpr_read_b32 v[vgprValuC+147], acc178 // copy acc to vreg[139]
v_accvgpr_read_b32 v[vgprValuC+148], acc131 // copy acc to vreg[140]
v_accvgpr_read_b32 v[vgprValuC+149], acc147 // copy acc to vreg[141]
v_accvgpr_read_b32 v[vgprValuC+150], acc163 // copy acc to vreg[142]
v_accvgpr_read_b32 v[vgprValuC+151], acc179 // copy acc to vreg[143]
v_accvgpr_read_b32 v[vgprValuC+152], acc132 // copy acc to vreg[144]
v_accvgpr_read_b32 v[vgprValuC+153], acc148 // copy acc to vreg[145]
v_accvgpr_read_b32 v[vgprValuC+154], acc164 // copy acc to vreg[146]
v_accvgpr_read_b32 v[vgprValuC+155], acc180 // copy acc to vreg[147]
v_accvgpr_read_b32 v[vgprValuC+156], acc133 // copy acc to vreg[148]
v_accvgpr_read_b32 v[vgprValuC+157], acc149 // copy acc to vreg[149]
v_accvgpr_read_b32 v[vgprValuC+158], acc165 // copy acc to vreg[150]
v_accvgpr_read_b32 v[vgprValuC+159], acc181 // copy acc to vreg[151]
v_accvgpr_read_b32 v[vgprValuC+160], acc134 // copy acc to vreg[152]
v_accvgpr_read_b32 v[vgprValuC+161], acc150 // copy acc to vreg[153]
v_accvgpr_read_b32 v[vgprValuC+162], acc166 // copy acc to vreg[154]
v_accvgpr_read_b32 v[vgprValuC+163], acc182 // copy acc to vreg[155]
v_accvgpr_read_b32 v[vgprValuC+164], acc135 // copy acc to vreg[156]
v_accvgpr_read_b32 v[vgprValuC+165], acc151 // copy acc to vreg[157]
v_accvgpr_read_b32 v[vgprValuC+166], acc167 // copy acc to vreg[158]
v_accvgpr_read_b32 v[vgprValuC+167], acc183 // copy acc to vreg[159]
v_accvgpr_read_b32 v[vgprValuC+168], acc136 // copy acc to vreg[160]
v_accvgpr_read_b32 v[vgprValuC+169], acc152 // copy acc to vreg[161]
v_accvgpr_read_b32 v[vgprValuC+170], acc168 // copy acc to vreg[162]
v_accvgpr_read_b32 v[vgprValuC+171], acc184 // copy acc to vreg[163]
v_accvgpr_read_b32 v[vgprValuC+175], acc137 // copy acc to vreg[164]
v_accvgpr_read_b32 v[vgprValuC+176], acc153 // copy acc to vreg[165]
v_accvgpr_read_b32 v[vgprValuC+177], acc169 // copy acc to vreg[166]
v_accvgpr_read_b32 v[vgprValuC+178], acc185 // copy acc to vreg[167]
v_accvgpr_read_b32 v[vgprValuC+179], acc138 // copy acc to vreg[168]
v_accvgpr_read_b32 v[vgprValuC+180], acc154 // copy acc to vreg[169]
v_accvgpr_read_b32 v[vgprValuC+181], acc170 // copy acc to vreg[170]
v_accvgpr_read_b32 v[vgprValuC+182], acc186 // copy acc to vreg[171]
v_accvgpr_read_b32 v[vgprValuC+183], acc139 // copy acc to vreg[172]
v_accvgpr_read_b32 v[vgprValuC+184], acc155 // copy acc to vreg[173]
v_accvgpr_read_b32 v[vgprValuC+185], acc171 // copy acc to vreg[174]
v_accvgpr_read_b32 v[vgprValuC+186], acc187 // copy acc to vreg[175]
v_accvgpr_read_b32 v[vgprValuC+187], acc140 // copy acc to vreg[176]
v_accvgpr_read_b32 v[vgprValuC+188], acc156 // copy acc to vreg[177]
v_accvgpr_read_b32 v[vgprValuC+189], acc172 // copy acc to vreg[178]
v_accvgpr_read_b32 v[vgprValuC+190], acc188 // copy acc to vreg[179]
v_accvgpr_read_b32 v[vgprValuC+191], acc141 // copy acc to vreg[180]
v_accvgpr_read_b32 v[vgprValuC+192], acc157 // copy acc to vreg[181]
v_accvgpr_read_b32 v[vgprValuC+193], acc173 // copy acc to vreg[182]
v_accvgpr_read_b32 v[vgprValuC+194], acc189 // copy acc to vreg[183]
v_accvgpr_read_b32 v[vgprValuC+195], acc142 // copy acc to vreg[184]
v_accvgpr_read_b32 v[vgprValuC+196], acc158 // copy acc to vreg[185]
v_accvgpr_read_b32 v[vgprValuC+197], acc174 // copy acc to vreg[186]
v_accvgpr_read_b32 v[vgprValuC+198], acc190 // copy acc to vreg[187]
v_accvgpr_read_b32 v[vgprValuC+199], acc143 // copy acc to vreg[188]
v_accvgpr_read_b32 v[vgprValuC+200], acc159 // copy acc to vreg[189]
v_accvgpr_read_b32 v[vgprValuC+201], acc175 // copy acc to vreg[190]
v_accvgpr_read_b32 v[vgprValuC+202], acc191 // copy acc to vreg[191]
s_nop 1                                            // 2 wait states required before reading vgpr

/* rC *= alpha batchElements=[(0, 0, 0, 0), (0, 1, 0, 0), (0, 2, 0, 0), (0, 3, 0, 0), (0, 0, 1, 0), (0, 1, 1, 0), (0, 2, 1, 0), (0, 3, 1, 0), (0, 0, 2, 0), (0, 1, 2, 0), (0, 2, 2, 0), (0, 3, 2, 0), (0, 0, 3, 0), (0, 1, 3, 0), (0, 2, 3, 0), (0, 3, 3, 0), (1, 0, 0, 0), (1, 1, 0, 0), (1, 2, 0, 0), (1, 3, 0, 0), (1, 0, 1, 0), (1, 1, 1, 0), (1, 2, 1, 0), (1, 3, 1, 0), (1, 0, 2, 0), (1, 1, 2, 0), (1, 2, 2, 0), (1, 3, 2, 0), (1, 0, 3, 0), (1, 1, 3, 0), (1, 2, 3, 0), (1, 3, 3, 0), (2, 0, 0, 0), (2, 1, 0, 0), (2, 2, 0, 0), (2, 3, 0, 0), (2, 0, 1, 0), (2, 1, 1, 0), (2, 2, 1, 0), (2, 3, 1, 0), (2, 0, 2, 0), (2, 1, 2, 0), (2, 2, 2, 0), (2, 3, 2, 0), (2, 0, 3, 0), (2, 1, 3, 0), (2, 2, 3, 0), (2, 3, 3, 0), (3, 0, 0, 0), (3, 1, 0, 0), (3, 2, 0, 0), (3, 3, 0, 0), (3, 0, 1, 0), (3, 1, 1, 0), (3, 2, 1, 0), (3, 3, 1, 0), (3, 0, 2, 0), (3, 1, 2, 0), (3, 2, 2, 0), (3, 3, 2, 0), (3, 0, 3, 0), (3, 1, 3, 0), (3, 2, 3, 0), (3, 3, 3, 0), (4, 0, 0, 0), (4, 1, 0, 0), (4, 2, 0, 0), (4, 3, 0, 0), (4, 0, 1, 0), (4, 1, 1, 0), (4, 2, 1, 0), (4, 3, 1, 0), (4, 0, 2, 0), (4, 1, 2, 0), (4, 2, 2, 0), (4, 3, 2, 0), (4, 0, 3, 0), (4, 1, 3, 0), (4, 2, 3, 0), (4, 3, 3, 0), (5, 0, 0, 0), (5, 1, 0, 0), (5, 2, 0, 0), (5, 3, 0, 0), (5, 0, 1, 0), (5, 1, 1, 0), (5, 2, 1, 0), (5, 3, 1, 0), (5, 0, 2, 0), (5, 1, 2, 0), (5, 2, 2, 0), (5, 3, 2, 0), (5, 0, 3, 0), (5, 1, 3, 0), (5, 2, 3, 0), (5, 3, 3, 0), (6, 0, 0, 0), (6, 1, 0, 0), (6, 2, 0, 0), (6, 3, 0, 0), (6, 0, 1, 0), (6, 1, 1, 0), (6, 2, 1, 0), (6, 3, 1, 0), (6, 0, 2, 0), (6, 1, 2, 0), (6, 2, 2, 0), (6, 3, 2, 0), (6, 0, 3, 0), (6, 1, 3, 0), (6, 2, 3, 0), (6, 3, 3, 0), (7, 0, 0, 0), (7, 1, 0, 0), (7, 2, 0, 0), (7, 3, 0, 0), (7, 0, 1, 0), (7, 1, 1, 0), (7, 2, 1, 0), (7, 3, 1, 0), (7, 0, 2, 0), (7, 1, 2, 0), (7, 2, 2, 0), (7, 3, 2, 0), (7, 0, 3, 0), (7, 1, 3, 0), (7, 2, 3, 0), (7, 3, 3, 0), (8, 0, 0, 0), (8, 1, 0, 0), (8, 2, 0, 0), (8, 3, 0, 0), (8, 0, 1, 0), (8, 1, 1, 0), (8, 2, 1, 0), (8, 3, 1, 0), (8, 0, 2, 0), (8, 1, 2, 0), (8, 2, 2, 0), (8, 3, 2, 0), (8, 0, 3, 0), (8, 1, 3, 0), (8, 2, 3, 0), (8, 3, 3, 0), (9, 0, 0, 0), (9, 1, 0, 0), (9, 2, 0, 0), (9, 3, 0, 0), (9, 0, 1, 0), (9, 1, 1, 0), (9, 2, 1, 0), (9, 3, 1, 0), (9, 0, 2, 0), (9, 1, 2, 0), (9, 2, 2, 0), (9, 3, 2, 0), (9, 0, 3, 0), (9, 1, 3, 0), (9, 2, 3, 0), (9, 3, 3, 0), (10, 0, 0, 0), (10, 1, 0, 0), (10, 2, 0, 0), (10, 3, 0, 0), (10, 0, 1, 0), (10, 1, 1, 0), (10, 2, 1, 0), (10, 3, 1, 0), (10, 0, 2, 0), (10, 1, 2, 0), (10, 2, 2, 0), (10, 3, 2, 0), (10, 0, 3, 0), (10, 1, 3, 0), (10, 2, 3, 0), (10, 3, 3, 0), (11, 0, 0, 0), (11, 1, 0, 0), (11, 2, 0, 0), (11, 3, 0, 0), (11, 0, 1, 0), (11, 1, 1, 0), (11, 2, 1, 0), (11, 3, 1, 0), (11, 0, 2, 0), (11, 1, 2, 0), (11, 2, 2, 0), (11, 3, 2, 0), (11, 0, 3, 0), (11, 1, 3, 0), (11, 2, 3, 0), (11, 3, 3, 0)] */
v_mul_f32 v[vgprValuC+8], s[sgprAlpha], v[vgprValuC+8] // *= alpha
v_mul_f32 v[vgprValuC+9], s[sgprAlpha], v[vgprValuC+9] // *= alpha
	;; [unrolled: 1-line block ×192, first 2 shown]

/* apply mask, calc new C and issue writes */
v_cvt_f16_f32 v[vgprValuC+8], v[vgprValuC+8]       // convert C to fp16
v_cvt_f16_f32 v[vgprValuC+9], v[vgprValuC+9]       // convert C to fp16
v_cvt_f16_f32 v[vgprValuC+10], v[vgprValuC+10]     // convert C to fp16
v_cvt_f16_f32 v[vgprValuC+11], v[vgprValuC+11]     // convert C to fp16
	;; [unrolled: 1-line block ×90, first 2 shown]
v_cvt_f16_f32 v[vgprValuC+100], v[vgprValuC+100]   // convert C to fp16
v_cvt_f16_f32 v[vgprValuC+101], v[vgprValuC+101]   // convert C to fp16
	;; [unrolled: 1-line block ×100, first 2 shown]
_buffer_store_b16 v8, v6, s[sgprSrdD:sgprSrdD+3], 0, offen, offset:0,  sc0 sc1 // store D
_buffer_store_b16 v9, v6, s[sgprSrdD:sgprSrdD+3], 0, offen, offset:128,  sc0 sc1 // store D
_buffer_store_b16 v10, v6, s[sgprSrdD:sgprSrdD+3], 0, offen, offset:256,  sc0 sc1 // store D
_buffer_store_b16 v11, v6, s[sgprSrdD:sgprSrdD+3], 0, offen, offset:384,  sc0 sc1 // store D
s_lshl_b32  s52, s[sgprStrideD1J], 1               // incToNextRow: Scale by BPE
s_add_u32  s[sgprSrdD+0], s[sgprSrdD+0], s52       // incToNextRow: gra SRD += inc(lower)
s_addc_u32  s[sgprSrdD+1], s[sgprSrdD+1], 0        // incToNextRow: gra SRD += inc(upper)
_buffer_store_b16 v12, v6, s[sgprSrdD:sgprSrdD+3], 0, offen, offset:0,  sc0 sc1 // store D
_buffer_store_b16 v13, v6, s[sgprSrdD:sgprSrdD+3], 0, offen, offset:128,  sc0 sc1 // store D
_buffer_store_b16 v14, v6, s[sgprSrdD:sgprSrdD+3], 0, offen, offset:256,  sc0 sc1 // store D
_buffer_store_b16 v15, v6, s[sgprSrdD:sgprSrdD+3], 0, offen, offset:384,  sc0 sc1 // store D
s_lshl_b32  s52, s[sgprStrideD1J], 1               // incToNextRow: Scale by BPE
s_add_u32  s[sgprSrdD+0], s[sgprSrdD+0], s52       // incToNextRow: gra SRD += inc(lower)
s_addc_u32  s[sgprSrdD+1], s[sgprSrdD+1], 0        // incToNextRow: gra SRD += inc(upper)
_buffer_store_b16 v16, v6, s[sgprSrdD:sgprSrdD+3], 0, offen, offset:0,  sc0 sc1 // store D
_buffer_store_b16 v17, v6, s[sgprSrdD:sgprSrdD+3], 0, offen, offset:128,  sc0 sc1 // store D
_buffer_store_b16 v18, v6, s[sgprSrdD:sgprSrdD+3], 0, offen, offset:256,  sc0 sc1 // store D
_buffer_store_b16 v19, v6, s[sgprSrdD:sgprSrdD+3], 0, offen, offset:384,  sc0 sc1 // store D
s_lshl_b32  s52, s[sgprStrideD1J], 1               // incToNextRow: Scale by BPE
s_add_u32  s[sgprSrdD+0], s[sgprSrdD+0], s52       // incToNextRow: gra SRD += inc(lower)
s_addc_u32  s[sgprSrdD+1], s[sgprSrdD+1], 0        // incToNextRow: gra SRD += inc(upper)
_buffer_store_b16 v20, v6, s[sgprSrdD:sgprSrdD+3], 0, offen, offset:0,  sc0 sc1 // store D
_buffer_store_b16 v21, v6, s[sgprSrdD:sgprSrdD+3], 0, offen, offset:128,  sc0 sc1 // store D
_buffer_store_b16 v22, v6, s[sgprSrdD:sgprSrdD+3], 0, offen, offset:256,  sc0 sc1 // store D
_buffer_store_b16 v23, v6, s[sgprSrdD:sgprSrdD+3], 0, offen, offset:384,  sc0 sc1 // store D
s_mul_i32 s52, s[sgprStrideD1J], 10                // scale StrideD *= numRows(5) * bpe
s_add_u32  s[sgprSrdD+0], s[sgprSrdD+0], s52       // incToNextRow: gra SRD += inc(lower)
s_addc_u32  s[sgprSrdD+1], s[sgprSrdD+1], 0        // incToNextRow: gra SRD += inc(upper)
_buffer_store_b16 v24, v6, s[sgprSrdD:sgprSrdD+3], 0, offen, offset:0,  sc0 sc1 // store D
_buffer_store_b16 v25, v6, s[sgprSrdD:sgprSrdD+3], 0, offen, offset:128,  sc0 sc1 // store D
_buffer_store_b16 v26, v6, s[sgprSrdD:sgprSrdD+3], 0, offen, offset:256,  sc0 sc1 // store D
_buffer_store_b16 v27, v6, s[sgprSrdD:sgprSrdD+3], 0, offen, offset:384,  sc0 sc1 // store D
s_lshl_b32  s52, s[sgprStrideD1J], 1               // incToNextRow: Scale by BPE
s_add_u32  s[sgprSrdD+0], s[sgprSrdD+0], s52       // incToNextRow: gra SRD += inc(lower)
s_addc_u32  s[sgprSrdD+1], s[sgprSrdD+1], 0        // incToNextRow: gra SRD += inc(upper)
_buffer_store_b16 v28, v6, s[sgprSrdD:sgprSrdD+3], 0, offen, offset:0,  sc0 sc1 // store D
_buffer_store_b16 v29, v6, s[sgprSrdD:sgprSrdD+3], 0, offen, offset:128,  sc0 sc1 // store D
_buffer_store_b16 v30, v6, s[sgprSrdD:sgprSrdD+3], 0, offen, offset:256,  sc0 sc1 // store D
_buffer_store_b16 v31, v6, s[sgprSrdD:sgprSrdD+3], 0, offen, offset:384,  sc0 sc1 // store D
s_lshl_b32  s52, s[sgprStrideD1J], 1               // incToNextRow: Scale by BPE
s_add_u32  s[sgprSrdD+0], s[sgprSrdD+0], s52       // incToNextRow: gra SRD += inc(lower)
s_addc_u32  s[sgprSrdD+1], s[sgprSrdD+1], 0        // incToNextRow: gra SRD += inc(upper)
_buffer_store_b16 v32, v6, s[sgprSrdD:sgprSrdD+3], 0, offen, offset:0,  sc0 sc1 // store D
_buffer_store_b16 v33, v6, s[sgprSrdD:sgprSrdD+3], 0, offen, offset:128,  sc0 sc1 // store D
_buffer_store_b16 v34, v6, s[sgprSrdD:sgprSrdD+3], 0, offen, offset:256,  sc0 sc1 // store D
_buffer_store_b16 v35, v6, s[sgprSrdD:sgprSrdD+3], 0, offen, offset:384,  sc0 sc1 // store D
s_lshl_b32  s52, s[sgprStrideD1J], 1               // incToNextRow: Scale by BPE
s_add_u32  s[sgprSrdD+0], s[sgprSrdD+0], s52       // incToNextRow: gra SRD += inc(lower)
s_addc_u32  s[sgprSrdD+1], s[sgprSrdD+1], 0        // incToNextRow: gra SRD += inc(upper)
_buffer_store_b16 v36, v6, s[sgprSrdD:sgprSrdD+3], 0, offen, offset:0,  sc0 sc1 // store D
_buffer_store_b16 v37, v6, s[sgprSrdD:sgprSrdD+3], 0, offen, offset:128,  sc0 sc1 // store D
_buffer_store_b16 v38, v6, s[sgprSrdD:sgprSrdD+3], 0, offen, offset:256,  sc0 sc1 // store D
_buffer_store_b16 v39, v6, s[sgprSrdD:sgprSrdD+3], 0, offen, offset:384,  sc0 sc1 // store D
s_mul_i32 s52, s[sgprStrideD1J], 10                // scale StrideD *= numRows(5) * bpe
s_add_u32  s[sgprSrdD+0], s[sgprSrdD+0], s52       // incToNextRow: gra SRD += inc(lower)
s_addc_u32  s[sgprSrdD+1], s[sgprSrdD+1], 0        // incToNextRow: gra SRD += inc(upper)
	;; [unrolled: 28-line block ×11, first 2 shown]
_buffer_store_b16 v187, v6, s[sgprSrdD:sgprSrdD+3], 0, offen, offset:0,  sc0 sc1 // store D
_buffer_store_b16 v188, v6, s[sgprSrdD:sgprSrdD+3], 0, offen, offset:128,  sc0 sc1 // store D
_buffer_store_b16 v189, v6, s[sgprSrdD:sgprSrdD+3], 0, offen, offset:256,  sc0 sc1 // store D
_buffer_store_b16 v190, v6, s[sgprSrdD:sgprSrdD+3], 0, offen, offset:384,  sc0 sc1 // store D
s_lshl_b32  s52, s[sgprStrideD1J], 1               // incToNextRow: Scale by BPE
s_add_u32  s[sgprSrdD+0], s[sgprSrdD+0], s52       // incToNextRow: gra SRD += inc(lower)
s_addc_u32  s[sgprSrdD+1], s[sgprSrdD+1], 0        // incToNextRow: gra SRD += inc(upper)
_buffer_store_b16 v191, v6, s[sgprSrdD:sgprSrdD+3], 0, offen, offset:0,  sc0 sc1 // store D
_buffer_store_b16 v192, v6, s[sgprSrdD:sgprSrdD+3], 0, offen, offset:128,  sc0 sc1 // store D
_buffer_store_b16 v193, v6, s[sgprSrdD:sgprSrdD+3], 0, offen, offset:256,  sc0 sc1 // store D
_buffer_store_b16 v194, v6, s[sgprSrdD:sgprSrdD+3], 0, offen, offset:384,  sc0 sc1 // store D
s_lshl_b32  s52, s[sgprStrideD1J], 1               // incToNextRow: Scale by BPE
s_add_u32  s[sgprSrdD+0], s[sgprSrdD+0], s52       // incToNextRow: gra SRD += inc(lower)
s_addc_u32  s[sgprSrdD+1], s[sgprSrdD+1], 0        // incToNextRow: gra SRD += inc(upper)
	;; [unrolled: 7-line block ×3, first 2 shown]
_buffer_store_b16 v199, v6, s[sgprSrdD:sgprSrdD+3], 0, offen, offset:0,  sc0 sc1 // store D
_buffer_store_b16 v200, v6, s[sgprSrdD:sgprSrdD+3], 0, offen, offset:128,  sc0 sc1 // store D
	;; [unrolled: 1-line block ×4, first 2 shown]
s_nop 0                                            // 1 wait state required when next inst writes vgprs held by previous dwordx4 store inst
s_branch label_GW_End_42                           // jump to end
GW_B0_E1_34:

/* edge=1, allocate 6 sgpr. perBatchTmpS=4 perBatchMaskS=2 perElementMaskS=0 elementsPerBatch=82 */
/* optSingleColVgpr=0 optSharedColVgpr=0 optSGPRUsage=BufferLoad_Edge_Mask optSrdIncForRow=0 */
s_sleep 3 // optimization: sync and wait
s_barrier

/******************************************/
/* Global Write Alpha Edge Batch #0 (d1,d0,vc1,vc0) = */
/*    (0,0,0,0:vw1); (0,1,0,0:vw1); (0,2,0,0:vw1); (0,3,0,0:vw1); (0,0,1,0:vw1); (0,1,1,0:vw1); (0,2,1,0:vw1); (0,3,1,0:vw1); (0,0,2,0:vw1); (0,1,2,0:vw1); (0,2,2,0:vw1); (0,3,2,0:vw1); (0,0,3,0:vw1); (0,1,3,0:vw1); (0,2,3,0:vw1); (0,3,3,0:vw1); (1,0,0,0:vw1); (1,1,0,0:vw1); (1,2,0,0:vw1); (1,3,0,0:vw1); (1,0,1,0:vw1); (1,1,1,0:vw1); (1,2,1,0:vw1); (1,3,1,0:vw1); (1,0,2,0:vw1); (1,1,2,0:vw1); (1,2,2,0:vw1); (1,3,2,0:vw1); (1,0,3,0:vw1); (1,1,3,0:vw1); (1,2,3,0:vw1); (1,3,3,0:vw1); (2,0,0,0:vw1); (2,1,0,0:vw1); (2,2,0,0:vw1); (2,3,0,0:vw1); (2,0,1,0:vw1); (2,1,1,0:vw1); (2,2,1,0:vw1); (2,3,1,0:vw1); (2,0,2,0:vw1); (2,1,2,0:vw1); (2,2,2,0:vw1); (2,3,2,0:vw1); (2,0,3,0:vw1); (2,1,3,0:vw1); (2,2,3,0:vw1); (2,3,3,0:vw1); (3,0,0,0:vw1); (3,1,0,0:vw1); (3,2,0,0:vw1); (3,3,0,0:vw1); (3,0,1,0:vw1); (3,1,1,0:vw1); (3,2,1,0:vw1); (3,3,1,0:vw1); (3,0,2,0:vw1); (3,1,2,0:vw1); (3,2,2,0:vw1); (3,3,2,0:vw1); (3,0,3,0:vw1); (3,1,3,0:vw1); (3,2,3,0:vw1); (3,3,3,0:vw1); (4,0,0,0:vw1); (4,1,0,0:vw1); (4,2,0,0:vw1); (4,3,0,0:vw1); (4,0,1,0:vw1); (4,1,1,0:vw1); (4,2,1,0:vw1); (4,3,1,0:vw1); (4,0,2,0:vw1); (4,1,2,0:vw1); (4,2,2,0:vw1); (4,3,2,0:vw1); (4,0,3,0:vw1); (4,1,3,0:vw1); (4,2,3,0:vw1); (4,3,3,0:vw1); (5,0,0,0:vw1); (5,1,0,0:vw1) */
/******************************************/

/* calc coords, apply mask, and issue loads (if necessary) */
/* (d1,vc1,d0,vc0)=(0,0,0,0) */
v_cmp_lt_u32 s[52:53], v0, s[sgprSizeI]            // coord0 < size0
v_cmp_lt_u32 s[56:57], v1, s[sgprSizeJ]            // coord1 < size1
s_and_b64 s[56:57], s[52:53], s[56:57]             // in0 && in1
_v_add_lshl_u32 v6, v3, v0, 0x1                    // scaleToBpe: accumulate d0 lower and *= bpe into Cin addr
v_cndmask_b32 v6, -1, v6, s[56:57]                 // LDD clip if OOB. offset
/* (d1,vc1,d0,vc0)=(0,0,1,0) */
_v_add_co_u32 v4, vcc, v0, 64                      // coord0.1: coord0 += d0*sg0*VW + vc0
v_cmp_lt_u32 s[52:53], v4, s[sgprSizeI]            // coord0 < size0
v_cmp_lt_u32 s[56:57], v1, s[sgprSizeJ]            // coord1 < size1
s_and_b64 s[56:57], s[52:53], s[56:57]             // in0 && in1
_v_add_lshl_u32 v9, v3, v4, 0x1                    // scaleToBpe: accumulate d0 lower and *= bpe into Cin addr
v_cndmask_b32 v9, -1, v9, s[56:57]                 // LDD clip if OOB. offset
/* (d1,vc1,d0,vc0)=(0,0,2,0) */
s_mov_b32 s52, 128                                 // coordOffset0 d0=2 vc0=0
_v_add_co_u32 v4, vcc, v0, s52                     // coord0.2: coord0 += d0*sg0*VW + vc0
v_cmp_lt_u32 s[52:53], v4, s[sgprSizeI]            // coord0 < size0
v_cmp_lt_u32 s[56:57], v1, s[sgprSizeJ]            // coord1 < size1
s_and_b64 s[56:57], s[52:53], s[56:57]             // in0 && in1
_v_add_lshl_u32 v12, v3, v4, 0x1                   // scaleToBpe: accumulate d0 lower and *= bpe into Cin addr
v_cndmask_b32 v12, -1, v12, s[56:57]               // LDD clip if OOB. offset
/* (d1,vc1,d0,vc0)=(0,0,3,0) */
s_mov_b32 s52, 192                                 // coordOffset0 d0=3 vc0=0
_v_add_co_u32 v4, vcc, v0, s52                     // coord0.2: coord0 += d0*sg0*VW + vc0
v_cmp_lt_u32 s[52:53], v4, s[sgprSizeI]            // coord0 < size0
v_cmp_lt_u32 s[56:57], v1, s[sgprSizeJ]            // coord1 < size1
s_and_b64 s[56:57], s[52:53], s[56:57]             // in0 && in1
_v_add_lshl_u32 v15, v3, v4, 0x1                   // scaleToBpe: accumulate d0 lower and *= bpe into Cin addr
v_cndmask_b32 v15, -1, v15, s[56:57]               // LDD clip if OOB. offset
/* (d1,vc1,d0,vc0)=(0,1,0,0) */
_v_add_co_u32 v1, vcc, v1, 1                       // coord1.1: coord1Vgpr += d1*sg1*VW + vc1

/* Fix for UseInitialStridesCD, emitAddressSetupCode */
_v_add_u32 v2, v2, s[sgprStrideC1J]                // ROWINC- Move cinRowPtr to next row
_v_add_u32 v3, v3, s[sgprStrideD1J]                // Move coutRowPtr to next row
v_cmp_lt_u32 s[52:53], v0, s[sgprSizeI]            // coord0 < size0
v_cmp_lt_u32 s[56:57], v1, s[sgprSizeJ]            // coord1 < size1
s_and_b64 s[56:57], s[52:53], s[56:57]             // in0 && in1
_v_add_lshl_u32 v18, v3, v0, 0x1                   // scaleToBpe: accumulate d0 lower and *= bpe into Cin addr
v_cndmask_b32 v18, -1, v18, s[56:57]               // LDD clip if OOB. offset
/* (d1,vc1,d0,vc0)=(0,1,1,0) */
_v_add_co_u32 v4, vcc, v0, 64                      // coord0.1: coord0 += d0*sg0*VW + vc0
v_cmp_lt_u32 s[52:53], v4, s[sgprSizeI]            // coord0 < size0
v_cmp_lt_u32 s[56:57], v1, s[sgprSizeJ]            // coord1 < size1
s_and_b64 s[56:57], s[52:53], s[56:57]             // in0 && in1
_v_add_lshl_u32 v21, v3, v4, 0x1                   // scaleToBpe: accumulate d0 lower and *= bpe into Cin addr
v_cndmask_b32 v21, -1, v21, s[56:57]               // LDD clip if OOB. offset
/* (d1,vc1,d0,vc0)=(0,1,2,0) */
s_mov_b32 s52, 128                                 // coordOffset0 d0=2 vc0=0
_v_add_co_u32 v4, vcc, v0, s52                     // coord0.2: coord0 += d0*sg0*VW + vc0
v_cmp_lt_u32 s[52:53], v4, s[sgprSizeI]            // coord0 < size0
v_cmp_lt_u32 s[56:57], v1, s[sgprSizeJ]            // coord1 < size1
s_and_b64 s[56:57], s[52:53], s[56:57]             // in0 && in1
_v_add_lshl_u32 v24, v3, v4, 0x1                   // scaleToBpe: accumulate d0 lower and *= bpe into Cin addr
v_cndmask_b32 v24, -1, v24, s[56:57]               // LDD clip if OOB. offset
/* (d1,vc1,d0,vc0)=(0,1,3,0) */
s_mov_b32 s52, 192                                 // coordOffset0 d0=3 vc0=0
_v_add_co_u32 v4, vcc, v0, s52                     // coord0.2: coord0 += d0*sg0*VW + vc0
v_cmp_lt_u32 s[52:53], v4, s[sgprSizeI]            // coord0 < size0
v_cmp_lt_u32 s[56:57], v1, s[sgprSizeJ]            // coord1 < size1
s_and_b64 s[56:57], s[52:53], s[56:57]             // in0 && in1
_v_add_lshl_u32 v27, v3, v4, 0x1                   // scaleToBpe: accumulate d0 lower and *= bpe into Cin addr
v_cndmask_b32 v27, -1, v27, s[56:57]               // LDD clip if OOB. offset
/* (d1,vc1,d0,vc0)=(0,2,0,0) */
_v_add_co_u32 v1, vcc, v1, 1                       // coord1.1: coord1Vgpr += d1*sg1*VW + vc1

/* Fix for UseInitialStridesCD, emitAddressSetupCode */
_v_add_u32 v2, v2, s[sgprStrideC1J]                // ROWINC- Move cinRowPtr to next row
_v_add_u32 v3, v3, s[sgprStrideD1J]                // Move coutRowPtr to next row
v_cmp_lt_u32 s[52:53], v0, s[sgprSizeI]            // coord0 < size0
v_cmp_lt_u32 s[56:57], v1, s[sgprSizeJ]            // coord1 < size1
s_and_b64 s[56:57], s[52:53], s[56:57]             // in0 && in1
_v_add_lshl_u32 v30, v3, v0, 0x1                   // scaleToBpe: accumulate d0 lower and *= bpe into Cin addr
v_cndmask_b32 v30, -1, v30, s[56:57]               // LDD clip if OOB. offset
/* (d1,vc1,d0,vc0)=(0,2,1,0) */
_v_add_co_u32 v4, vcc, v0, 64                      // coord0.1: coord0 += d0*sg0*VW + vc0
v_cmp_lt_u32 s[52:53], v4, s[sgprSizeI]            // coord0 < size0
v_cmp_lt_u32 s[56:57], v1, s[sgprSizeJ]            // coord1 < size1
s_and_b64 s[56:57], s[52:53], s[56:57]             // in0 && in1
_v_add_lshl_u32 v33, v3, v4, 0x1                   // scaleToBpe: accumulate d0 lower and *= bpe into Cin addr
v_cndmask_b32 v33, -1, v33, s[56:57]               // LDD clip if OOB. offset
	;; [unrolled: 34-line block ×3, first 2 shown]
/* (d1,vc1,d0,vc0)=(0,3,2,0) */
s_mov_b32 s52, 128                                 // coordOffset0 d0=2 vc0=0
_v_add_co_u32 v4, vcc, v0, s52                     // coord0.2: coord0 += d0*sg0*VW + vc0
v_cmp_lt_u32 s[52:53], v4, s[sgprSizeI]            // coord0 < size0
v_cmp_lt_u32 s[56:57], v1, s[sgprSizeJ]            // coord1 < size1
s_and_b64 s[56:57], s[52:53], s[56:57]             // in0 && in1
_v_add_lshl_u32 v48, v3, v4, 0x1                   // scaleToBpe: accumulate d0 lower and *= bpe into Cin addr
v_cndmask_b32 v48, -1, v48, s[56:57]               // LDD clip if OOB. offset
/* (d1,vc1,d0,vc0)=(0,3,3,0) */
s_mov_b32 s52, 192                                 // coordOffset0 d0=3 vc0=0
_v_add_co_u32 v4, vcc, v0, s52                     // coord0.2: coord0 += d0*sg0*VW + vc0
v_cmp_lt_u32 s[52:53], v4, s[sgprSizeI]            // coord0 < size0
v_cmp_lt_u32 s[56:57], v1, s[sgprSizeJ]            // coord1 < size1
s_and_b64 s[56:57], s[52:53], s[56:57]             // in0 && in1
_v_add_lshl_u32 v51, v3, v4, 0x1                   // scaleToBpe: accumulate d0 lower and *= bpe into Cin addr
v_cndmask_b32 v51, -1, v51, s[56:57]               // LDD clip if OOB. offset
/* (d1,vc1,d0,vc0)=(1,0,0,0) */
_v_add_co_u32 v1, vcc, v1, 5                       // coord1.1: coord1Vgpr += d1*sg1*VW + vc1

/* Fix for UseInitialStridesCD, emitAddressSetupCode */
s_mul_i32 s52, s[sgprStrideC1J], 5                 // scale stride
_v_add_u32 v2, v2, s52                             // ROWINC- Move cinRowPtr to next row
s_mul_i32 s52, s[sgprStrideD1J], 5                 // scale stride
_v_add_u32 v3, v3, s52                             // Move coutRowPtr to next row
v_cmp_lt_u32 s[52:53], v0, s[sgprSizeI]            // coord0 < size0
v_cmp_lt_u32 s[56:57], v1, s[sgprSizeJ]            // coord1 < size1
s_and_b64 s[56:57], s[52:53], s[56:57]             // in0 && in1
_v_add_lshl_u32 v54, v3, v0, 0x1                   // scaleToBpe: accumulate d0 lower and *= bpe into Cin addr
v_cndmask_b32 v54, -1, v54, s[56:57]               // LDD clip if OOB. offset
/* (d1,vc1,d0,vc0)=(1,0,1,0) */
_v_add_co_u32 v4, vcc, v0, 64                      // coord0.1: coord0 += d0*sg0*VW + vc0
v_cmp_lt_u32 s[52:53], v4, s[sgprSizeI]            // coord0 < size0
v_cmp_lt_u32 s[56:57], v1, s[sgprSizeJ]            // coord1 < size1
s_and_b64 s[56:57], s[52:53], s[56:57]             // in0 && in1
_v_add_lshl_u32 v57, v3, v4, 0x1                   // scaleToBpe: accumulate d0 lower and *= bpe into Cin addr
v_cndmask_b32 v57, -1, v57, s[56:57]               // LDD clip if OOB. offset
/* (d1,vc1,d0,vc0)=(1,0,2,0) */
s_mov_b32 s52, 128                                 // coordOffset0 d0=2 vc0=0
_v_add_co_u32 v4, vcc, v0, s52                     // coord0.2: coord0 += d0*sg0*VW + vc0
v_cmp_lt_u32 s[52:53], v4, s[sgprSizeI]            // coord0 < size0
v_cmp_lt_u32 s[56:57], v1, s[sgprSizeJ]            // coord1 < size1
s_and_b64 s[56:57], s[52:53], s[56:57]             // in0 && in1
_v_add_lshl_u32 v60, v3, v4, 0x1                   // scaleToBpe: accumulate d0 lower and *= bpe into Cin addr
v_cndmask_b32 v60, -1, v60, s[56:57]               // LDD clip if OOB. offset
/* (d1,vc1,d0,vc0)=(1,0,3,0) */
s_mov_b32 s52, 192                                 // coordOffset0 d0=3 vc0=0
_v_add_co_u32 v4, vcc, v0, s52                     // coord0.2: coord0 += d0*sg0*VW + vc0
v_cmp_lt_u32 s[52:53], v4, s[sgprSizeI]            // coord0 < size0
v_cmp_lt_u32 s[56:57], v1, s[sgprSizeJ]            // coord1 < size1
s_and_b64 s[56:57], s[52:53], s[56:57]             // in0 && in1
_v_add_lshl_u32 v63, v3, v4, 0x1                   // scaleToBpe: accumulate d0 lower and *= bpe into Cin addr
v_cndmask_b32 v63, -1, v63, s[56:57]               // LDD clip if OOB. offset
/* (d1,vc1,d0,vc0)=(1,1,0,0) */
_v_add_co_u32 v1, vcc, v1, 1                       // coord1.1: coord1Vgpr += d1*sg1*VW + vc1

/* Fix for UseInitialStridesCD, emitAddressSetupCode */
_v_add_u32 v2, v2, s[sgprStrideC1J]                // ROWINC- Move cinRowPtr to next row
_v_add_u32 v3, v3, s[sgprStrideD1J]                // Move coutRowPtr to next row
v_cmp_lt_u32 s[52:53], v0, s[sgprSizeI]            // coord0 < size0
v_cmp_lt_u32 s[56:57], v1, s[sgprSizeJ]            // coord1 < size1
s_and_b64 s[56:57], s[52:53], s[56:57]             // in0 && in1
_v_add_lshl_u32 v66, v3, v0, 0x1                   // scaleToBpe: accumulate d0 lower and *= bpe into Cin addr
v_cndmask_b32 v66, -1, v66, s[56:57]               // LDD clip if OOB. offset
/* (d1,vc1,d0,vc0)=(1,1,1,0) */
_v_add_co_u32 v4, vcc, v0, 64                      // coord0.1: coord0 += d0*sg0*VW + vc0
v_cmp_lt_u32 s[52:53], v4, s[sgprSizeI]            // coord0 < size0
v_cmp_lt_u32 s[56:57], v1, s[sgprSizeJ]            // coord1 < size1
s_and_b64 s[56:57], s[52:53], s[56:57]             // in0 && in1
_v_add_lshl_u32 v69, v3, v4, 0x1                   // scaleToBpe: accumulate d0 lower and *= bpe into Cin addr
v_cndmask_b32 v69, -1, v69, s[56:57]               // LDD clip if OOB. offset
/* (d1,vc1,d0,vc0)=(1,1,2,0) */
s_mov_b32 s52, 128                                 // coordOffset0 d0=2 vc0=0
_v_add_co_u32 v4, vcc, v0, s52                     // coord0.2: coord0 += d0*sg0*VW + vc0
v_cmp_lt_u32 s[52:53], v4, s[sgprSizeI]            // coord0 < size0
v_cmp_lt_u32 s[56:57], v1, s[sgprSizeJ]            // coord1 < size1
s_and_b64 s[56:57], s[52:53], s[56:57]             // in0 && in1
_v_add_lshl_u32 v72, v3, v4, 0x1                   // scaleToBpe: accumulate d0 lower and *= bpe into Cin addr
v_cndmask_b32 v72, -1, v72, s[56:57]               // LDD clip if OOB. offset
/* (d1,vc1,d0,vc0)=(1,1,3,0) */
s_mov_b32 s52, 192                                 // coordOffset0 d0=3 vc0=0
_v_add_co_u32 v4, vcc, v0, s52                     // coord0.2: coord0 += d0*sg0*VW + vc0
v_cmp_lt_u32 s[52:53], v4, s[sgprSizeI]            // coord0 < size0
v_cmp_lt_u32 s[56:57], v1, s[sgprSizeJ]            // coord1 < size1
s_and_b64 s[56:57], s[52:53], s[56:57]             // in0 && in1
_v_add_lshl_u32 v75, v3, v4, 0x1                   // scaleToBpe: accumulate d0 lower and *= bpe into Cin addr
v_cndmask_b32 v75, -1, v75, s[56:57]               // LDD clip if OOB. offset
/* (d1,vc1,d0,vc0)=(1,2,0,0) */
_v_add_co_u32 v1, vcc, v1, 1                       // coord1.1: coord1Vgpr += d1*sg1*VW + vc1

/* Fix for UseInitialStridesCD, emitAddressSetupCode */
_v_add_u32 v2, v2, s[sgprStrideC1J]                // ROWINC- Move cinRowPtr to next row
_v_add_u32 v3, v3, s[sgprStrideD1J]                // Move coutRowPtr to next row
	;; [unrolled: 34-line block ×3, first 2 shown]
v_cmp_lt_u32 s[52:53], v0, s[sgprSizeI]            // coord0 < size0
v_cmp_lt_u32 s[56:57], v1, s[sgprSizeJ]            // coord1 < size1
s_and_b64 s[56:57], s[52:53], s[56:57]             // in0 && in1
_v_add_lshl_u32 v90, v3, v0, 0x1                   // scaleToBpe: accumulate d0 lower and *= bpe into Cin addr
v_cndmask_b32 v90, -1, v90, s[56:57]               // LDD clip if OOB. offset
/* (d1,vc1,d0,vc0)=(1,3,1,0) */
_v_add_co_u32 v4, vcc, v0, 64                      // coord0.1: coord0 += d0*sg0*VW + vc0
v_cmp_lt_u32 s[52:53], v4, s[sgprSizeI]            // coord0 < size0
v_cmp_lt_u32 s[56:57], v1, s[sgprSizeJ]            // coord1 < size1
s_and_b64 s[56:57], s[52:53], s[56:57]             // in0 && in1
_v_add_lshl_u32 v93, v3, v4, 0x1                   // scaleToBpe: accumulate d0 lower and *= bpe into Cin addr
v_cndmask_b32 v93, -1, v93, s[56:57]               // LDD clip if OOB. offset
/* (d1,vc1,d0,vc0)=(1,3,2,0) */
s_mov_b32 s52, 128                                 // coordOffset0 d0=2 vc0=0
_v_add_co_u32 v4, vcc, v0, s52                     // coord0.2: coord0 += d0*sg0*VW + vc0
v_cmp_lt_u32 s[52:53], v4, s[sgprSizeI]            // coord0 < size0
v_cmp_lt_u32 s[56:57], v1, s[sgprSizeJ]            // coord1 < size1
s_and_b64 s[56:57], s[52:53], s[56:57]             // in0 && in1
_v_add_lshl_u32 v96, v3, v4, 0x1                   // scaleToBpe: accumulate d0 lower and *= bpe into Cin addr
v_cndmask_b32 v96, -1, v96, s[56:57]               // LDD clip if OOB. offset
/* (d1,vc1,d0,vc0)=(1,3,3,0) */
s_mov_b32 s52, 192                                 // coordOffset0 d0=3 vc0=0
_v_add_co_u32 v4, vcc, v0, s52                     // coord0.2: coord0 += d0*sg0*VW + vc0
v_cmp_lt_u32 s[52:53], v4, s[sgprSizeI]            // coord0 < size0
v_cmp_lt_u32 s[56:57], v1, s[sgprSizeJ]            // coord1 < size1
s_and_b64 s[56:57], s[52:53], s[56:57]             // in0 && in1
_v_add_lshl_u32 v99, v3, v4, 0x1                   // scaleToBpe: accumulate d0 lower and *= bpe into Cin addr
v_cndmask_b32 v99, -1, v99, s[56:57]               // LDD clip if OOB. offset
/* (d1,vc1,d0,vc0)=(2,0,0,0) */
_v_add_co_u32 v1, vcc, v1, 5                       // coord1.1: coord1Vgpr += d1*sg1*VW + vc1

/* Fix for UseInitialStridesCD, emitAddressSetupCode */
s_mul_i32 s52, s[sgprStrideC1J], 5                 // scale stride
_v_add_u32 v2, v2, s52                             // ROWINC- Move cinRowPtr to next row
s_mul_i32 s52, s[sgprStrideD1J], 5                 // scale stride
_v_add_u32 v3, v3, s52                             // Move coutRowPtr to next row
v_cmp_lt_u32 s[52:53], v0, s[sgprSizeI]            // coord0 < size0
v_cmp_lt_u32 s[56:57], v1, s[sgprSizeJ]            // coord1 < size1
s_and_b64 s[56:57], s[52:53], s[56:57]             // in0 && in1
_v_add_lshl_u32 v102, v3, v0, 0x1                  // scaleToBpe: accumulate d0 lower and *= bpe into Cin addr
v_cndmask_b32 v102, -1, v102, s[56:57]             // LDD clip if OOB. offset
/* (d1,vc1,d0,vc0)=(2,0,1,0) */
_v_add_co_u32 v4, vcc, v0, 64                      // coord0.1: coord0 += d0*sg0*VW + vc0
v_cmp_lt_u32 s[52:53], v4, s[sgprSizeI]            // coord0 < size0
v_cmp_lt_u32 s[56:57], v1, s[sgprSizeJ]            // coord1 < size1
s_and_b64 s[56:57], s[52:53], s[56:57]             // in0 && in1
_v_add_lshl_u32 v105, v3, v4, 0x1                  // scaleToBpe: accumulate d0 lower and *= bpe into Cin addr
v_cndmask_b32 v105, -1, v105, s[56:57]             // LDD clip if OOB. offset
/* (d1,vc1,d0,vc0)=(2,0,2,0) */
s_mov_b32 s52, 128                                 // coordOffset0 d0=2 vc0=0
_v_add_co_u32 v4, vcc, v0, s52                     // coord0.2: coord0 += d0*sg0*VW + vc0
v_cmp_lt_u32 s[52:53], v4, s[sgprSizeI]            // coord0 < size0
v_cmp_lt_u32 s[56:57], v1, s[sgprSizeJ]            // coord1 < size1
s_and_b64 s[56:57], s[52:53], s[56:57]             // in0 && in1
_v_add_lshl_u32 v108, v3, v4, 0x1                  // scaleToBpe: accumulate d0 lower and *= bpe into Cin addr
v_cndmask_b32 v108, -1, v108, s[56:57]             // LDD clip if OOB. offset
/* (d1,vc1,d0,vc0)=(2,0,3,0) */
s_mov_b32 s52, 192                                 // coordOffset0 d0=3 vc0=0
_v_add_co_u32 v4, vcc, v0, s52                     // coord0.2: coord0 += d0*sg0*VW + vc0
v_cmp_lt_u32 s[52:53], v4, s[sgprSizeI]            // coord0 < size0
v_cmp_lt_u32 s[56:57], v1, s[sgprSizeJ]            // coord1 < size1
s_and_b64 s[56:57], s[52:53], s[56:57]             // in0 && in1
_v_add_lshl_u32 v111, v3, v4, 0x1                  // scaleToBpe: accumulate d0 lower and *= bpe into Cin addr
v_cndmask_b32 v111, -1, v111, s[56:57]             // LDD clip if OOB. offset
/* (d1,vc1,d0,vc0)=(2,1,0,0) */
_v_add_co_u32 v1, vcc, v1, 1                       // coord1.1: coord1Vgpr += d1*sg1*VW + vc1

/* Fix for UseInitialStridesCD, emitAddressSetupCode */
_v_add_u32 v2, v2, s[sgprStrideC1J]                // ROWINC- Move cinRowPtr to next row
_v_add_u32 v3, v3, s[sgprStrideD1J]                // Move coutRowPtr to next row
v_cmp_lt_u32 s[52:53], v0, s[sgprSizeI]            // coord0 < size0
v_cmp_lt_u32 s[56:57], v1, s[sgprSizeJ]            // coord1 < size1
s_and_b64 s[56:57], s[52:53], s[56:57]             // in0 && in1
_v_add_lshl_u32 v114, v3, v0, 0x1                  // scaleToBpe: accumulate d0 lower and *= bpe into Cin addr
v_cndmask_b32 v114, -1, v114, s[56:57]             // LDD clip if OOB. offset
/* (d1,vc1,d0,vc0)=(2,1,1,0) */
_v_add_co_u32 v4, vcc, v0, 64                      // coord0.1: coord0 += d0*sg0*VW + vc0
v_cmp_lt_u32 s[52:53], v4, s[sgprSizeI]            // coord0 < size0
v_cmp_lt_u32 s[56:57], v1, s[sgprSizeJ]            // coord1 < size1
s_and_b64 s[56:57], s[52:53], s[56:57]             // in0 && in1
_v_add_lshl_u32 v117, v3, v4, 0x1                  // scaleToBpe: accumulate d0 lower and *= bpe into Cin addr
v_cndmask_b32 v117, -1, v117, s[56:57]             // LDD clip if OOB. offset
/* (d1,vc1,d0,vc0)=(2,1,2,0) */
s_mov_b32 s52, 128                                 // coordOffset0 d0=2 vc0=0
_v_add_co_u32 v4, vcc, v0, s52                     // coord0.2: coord0 += d0*sg0*VW + vc0
v_cmp_lt_u32 s[52:53], v4, s[sgprSizeI]            // coord0 < size0
v_cmp_lt_u32 s[56:57], v1, s[sgprSizeJ]            // coord1 < size1
s_and_b64 s[56:57], s[52:53], s[56:57]             // in0 && in1
_v_add_lshl_u32 v120, v3, v4, 0x1                  // scaleToBpe: accumulate d0 lower and *= bpe into Cin addr
v_cndmask_b32 v120, -1, v120, s[56:57]             // LDD clip if OOB. offset
/* (d1,vc1,d0,vc0)=(2,1,3,0) */
s_mov_b32 s52, 192                                 // coordOffset0 d0=3 vc0=0
_v_add_co_u32 v4, vcc, v0, s52                     // coord0.2: coord0 += d0*sg0*VW + vc0
v_cmp_lt_u32 s[52:53], v4, s[sgprSizeI]            // coord0 < size0
v_cmp_lt_u32 s[56:57], v1, s[sgprSizeJ]            // coord1 < size1
s_and_b64 s[56:57], s[52:53], s[56:57]             // in0 && in1
_v_add_lshl_u32 v123, v3, v4, 0x1                  // scaleToBpe: accumulate d0 lower and *= bpe into Cin addr
v_cndmask_b32 v123, -1, v123, s[56:57]             // LDD clip if OOB. offset
/* (d1,vc1,d0,vc0)=(2,2,0,0) */
_v_add_co_u32 v1, vcc, v1, 1                       // coord1.1: coord1Vgpr += d1*sg1*VW + vc1

/* Fix for UseInitialStridesCD, emitAddressSetupCode */
_v_add_u32 v2, v2, s[sgprStrideC1J]                // ROWINC- Move cinRowPtr to next row
_v_add_u32 v3, v3, s[sgprStrideD1J]                // Move coutRowPtr to next row
	;; [unrolled: 34-line block ×3, first 2 shown]
v_cmp_lt_u32 s[52:53], v0, s[sgprSizeI]            // coord0 < size0
v_cmp_lt_u32 s[56:57], v1, s[sgprSizeJ]            // coord1 < size1
s_and_b64 s[56:57], s[52:53], s[56:57]             // in0 && in1
_v_add_lshl_u32 v138, v3, v0, 0x1                  // scaleToBpe: accumulate d0 lower and *= bpe into Cin addr
v_cndmask_b32 v138, -1, v138, s[56:57]             // LDD clip if OOB. offset
/* (d1,vc1,d0,vc0)=(2,3,1,0) */
_v_add_co_u32 v4, vcc, v0, 64                      // coord0.1: coord0 += d0*sg0*VW + vc0
v_cmp_lt_u32 s[52:53], v4, s[sgprSizeI]            // coord0 < size0
v_cmp_lt_u32 s[56:57], v1, s[sgprSizeJ]            // coord1 < size1
s_and_b64 s[56:57], s[52:53], s[56:57]             // in0 && in1
_v_add_lshl_u32 v141, v3, v4, 0x1                  // scaleToBpe: accumulate d0 lower and *= bpe into Cin addr
v_cndmask_b32 v141, -1, v141, s[56:57]             // LDD clip if OOB. offset
/* (d1,vc1,d0,vc0)=(2,3,2,0) */
s_mov_b32 s52, 128                                 // coordOffset0 d0=2 vc0=0
_v_add_co_u32 v4, vcc, v0, s52                     // coord0.2: coord0 += d0*sg0*VW + vc0
v_cmp_lt_u32 s[52:53], v4, s[sgprSizeI]            // coord0 < size0
v_cmp_lt_u32 s[56:57], v1, s[sgprSizeJ]            // coord1 < size1
s_and_b64 s[56:57], s[52:53], s[56:57]             // in0 && in1
_v_add_lshl_u32 v144, v3, v4, 0x1                  // scaleToBpe: accumulate d0 lower and *= bpe into Cin addr
v_cndmask_b32 v144, -1, v144, s[56:57]             // LDD clip if OOB. offset
/* (d1,vc1,d0,vc0)=(2,3,3,0) */
s_mov_b32 s52, 192                                 // coordOffset0 d0=3 vc0=0
_v_add_co_u32 v4, vcc, v0, s52                     // coord0.2: coord0 += d0*sg0*VW + vc0
v_cmp_lt_u32 s[52:53], v4, s[sgprSizeI]            // coord0 < size0
v_cmp_lt_u32 s[56:57], v1, s[sgprSizeJ]            // coord1 < size1
s_and_b64 s[56:57], s[52:53], s[56:57]             // in0 && in1
_v_add_lshl_u32 v147, v3, v4, 0x1                  // scaleToBpe: accumulate d0 lower and *= bpe into Cin addr
v_cndmask_b32 v147, -1, v147, s[56:57]             // LDD clip if OOB. offset
/* (d1,vc1,d0,vc0)=(3,0,0,0) */
_v_add_co_u32 v1, vcc, v1, 5                       // coord1.1: coord1Vgpr += d1*sg1*VW + vc1

/* Fix for UseInitialStridesCD, emitAddressSetupCode */
s_mul_i32 s52, s[sgprStrideC1J], 5                 // scale stride
_v_add_u32 v2, v2, s52                             // ROWINC- Move cinRowPtr to next row
s_mul_i32 s52, s[sgprStrideD1J], 5                 // scale stride
_v_add_u32 v3, v3, s52                             // Move coutRowPtr to next row
v_cmp_lt_u32 s[52:53], v0, s[sgprSizeI]            // coord0 < size0
v_cmp_lt_u32 s[56:57], v1, s[sgprSizeJ]            // coord1 < size1
s_and_b64 s[56:57], s[52:53], s[56:57]             // in0 && in1
_v_add_lshl_u32 v150, v3, v0, 0x1                  // scaleToBpe: accumulate d0 lower and *= bpe into Cin addr
v_cndmask_b32 v150, -1, v150, s[56:57]             // LDD clip if OOB. offset
/* (d1,vc1,d0,vc0)=(3,0,1,0) */
_v_add_co_u32 v4, vcc, v0, 64                      // coord0.1: coord0 += d0*sg0*VW + vc0
v_cmp_lt_u32 s[52:53], v4, s[sgprSizeI]            // coord0 < size0
v_cmp_lt_u32 s[56:57], v1, s[sgprSizeJ]            // coord1 < size1
s_and_b64 s[56:57], s[52:53], s[56:57]             // in0 && in1
_v_add_lshl_u32 v153, v3, v4, 0x1                  // scaleToBpe: accumulate d0 lower and *= bpe into Cin addr
v_cndmask_b32 v153, -1, v153, s[56:57]             // LDD clip if OOB. offset
/* (d1,vc1,d0,vc0)=(3,0,2,0) */
s_mov_b32 s52, 128                                 // coordOffset0 d0=2 vc0=0
_v_add_co_u32 v4, vcc, v0, s52                     // coord0.2: coord0 += d0*sg0*VW + vc0
v_cmp_lt_u32 s[52:53], v4, s[sgprSizeI]            // coord0 < size0
v_cmp_lt_u32 s[56:57], v1, s[sgprSizeJ]            // coord1 < size1
s_and_b64 s[56:57], s[52:53], s[56:57]             // in0 && in1
_v_add_lshl_u32 v156, v3, v4, 0x1                  // scaleToBpe: accumulate d0 lower and *= bpe into Cin addr
v_cndmask_b32 v156, -1, v156, s[56:57]             // LDD clip if OOB. offset
/* (d1,vc1,d0,vc0)=(3,0,3,0) */
s_mov_b32 s52, 192                                 // coordOffset0 d0=3 vc0=0
_v_add_co_u32 v4, vcc, v0, s52                     // coord0.2: coord0 += d0*sg0*VW + vc0
v_cmp_lt_u32 s[52:53], v4, s[sgprSizeI]            // coord0 < size0
v_cmp_lt_u32 s[56:57], v1, s[sgprSizeJ]            // coord1 < size1
s_and_b64 s[56:57], s[52:53], s[56:57]             // in0 && in1
_v_add_lshl_u32 v159, v3, v4, 0x1                  // scaleToBpe: accumulate d0 lower and *= bpe into Cin addr
v_cndmask_b32 v159, -1, v159, s[56:57]             // LDD clip if OOB. offset
/* (d1,vc1,d0,vc0)=(3,1,0,0) */
_v_add_co_u32 v1, vcc, v1, 1                       // coord1.1: coord1Vgpr += d1*sg1*VW + vc1

/* Fix for UseInitialStridesCD, emitAddressSetupCode */
_v_add_u32 v2, v2, s[sgprStrideC1J]                // ROWINC- Move cinRowPtr to next row
_v_add_u32 v3, v3, s[sgprStrideD1J]                // Move coutRowPtr to next row
v_cmp_lt_u32 s[52:53], v0, s[sgprSizeI]            // coord0 < size0
v_cmp_lt_u32 s[56:57], v1, s[sgprSizeJ]            // coord1 < size1
s_and_b64 s[56:57], s[52:53], s[56:57]             // in0 && in1
_v_add_lshl_u32 v162, v3, v0, 0x1                  // scaleToBpe: accumulate d0 lower and *= bpe into Cin addr
v_cndmask_b32 v162, -1, v162, s[56:57]             // LDD clip if OOB. offset
/* (d1,vc1,d0,vc0)=(3,1,1,0) */
_v_add_co_u32 v4, vcc, v0, 64                      // coord0.1: coord0 += d0*sg0*VW + vc0
v_cmp_lt_u32 s[52:53], v4, s[sgprSizeI]            // coord0 < size0
v_cmp_lt_u32 s[56:57], v1, s[sgprSizeJ]            // coord1 < size1
s_and_b64 s[56:57], s[52:53], s[56:57]             // in0 && in1
_v_add_lshl_u32 v165, v3, v4, 0x1                  // scaleToBpe: accumulate d0 lower and *= bpe into Cin addr
v_cndmask_b32 v165, -1, v165, s[56:57]             // LDD clip if OOB. offset
/* (d1,vc1,d0,vc0)=(3,1,2,0) */
s_mov_b32 s52, 128                                 // coordOffset0 d0=2 vc0=0
_v_add_co_u32 v4, vcc, v0, s52                     // coord0.2: coord0 += d0*sg0*VW + vc0
v_cmp_lt_u32 s[52:53], v4, s[sgprSizeI]            // coord0 < size0
v_cmp_lt_u32 s[56:57], v1, s[sgprSizeJ]            // coord1 < size1
s_and_b64 s[56:57], s[52:53], s[56:57]             // in0 && in1
_v_add_lshl_u32 v168, v3, v4, 0x1                  // scaleToBpe: accumulate d0 lower and *= bpe into Cin addr
v_cndmask_b32 v168, -1, v168, s[56:57]             // LDD clip if OOB. offset
/* (d1,vc1,d0,vc0)=(3,1,3,0) */
s_mov_b32 s52, 192                                 // coordOffset0 d0=3 vc0=0
_v_add_co_u32 v4, vcc, v0, s52                     // coord0.2: coord0 += d0*sg0*VW + vc0
v_cmp_lt_u32 s[52:53], v4, s[sgprSizeI]            // coord0 < size0
v_cmp_lt_u32 s[56:57], v1, s[sgprSizeJ]            // coord1 < size1
s_and_b64 s[56:57], s[52:53], s[56:57]             // in0 && in1
_v_add_lshl_u32 v171, v3, v4, 0x1                  // scaleToBpe: accumulate d0 lower and *= bpe into Cin addr
v_cndmask_b32 v171, -1, v171, s[56:57]             // LDD clip if OOB. offset
/* (d1,vc1,d0,vc0)=(3,2,0,0) */
_v_add_co_u32 v1, vcc, v1, 1                       // coord1.1: coord1Vgpr += d1*sg1*VW + vc1

/* Fix for UseInitialStridesCD, emitAddressSetupCode */
_v_add_u32 v2, v2, s[sgprStrideC1J]                // ROWINC- Move cinRowPtr to next row
_v_add_u32 v3, v3, s[sgprStrideD1J]                // Move coutRowPtr to next row
	;; [unrolled: 34-line block ×3, first 2 shown]
v_cmp_lt_u32 s[52:53], v0, s[sgprSizeI]            // coord0 < size0
v_cmp_lt_u32 s[56:57], v1, s[sgprSizeJ]            // coord1 < size1
s_and_b64 s[56:57], s[52:53], s[56:57]             // in0 && in1
_v_add_lshl_u32 v189, v3, v0, 0x1                  // scaleToBpe: accumulate d0 lower and *= bpe into Cin addr
v_cndmask_b32 v189, -1, v189, s[56:57]             // LDD clip if OOB. offset
/* (d1,vc1,d0,vc0)=(3,3,1,0) */
_v_add_co_u32 v4, vcc, v0, 64                      // coord0.1: coord0 += d0*sg0*VW + vc0
v_cmp_lt_u32 s[52:53], v4, s[sgprSizeI]            // coord0 < size0
v_cmp_lt_u32 s[56:57], v1, s[sgprSizeJ]            // coord1 < size1
s_and_b64 s[56:57], s[52:53], s[56:57]             // in0 && in1
_v_add_lshl_u32 v192, v3, v4, 0x1                  // scaleToBpe: accumulate d0 lower and *= bpe into Cin addr
v_cndmask_b32 v192, -1, v192, s[56:57]             // LDD clip if OOB. offset
/* (d1,vc1,d0,vc0)=(3,3,2,0) */
s_mov_b32 s52, 128                                 // coordOffset0 d0=2 vc0=0
_v_add_co_u32 v4, vcc, v0, s52                     // coord0.2: coord0 += d0*sg0*VW + vc0
v_cmp_lt_u32 s[52:53], v4, s[sgprSizeI]            // coord0 < size0
v_cmp_lt_u32 s[56:57], v1, s[sgprSizeJ]            // coord1 < size1
s_and_b64 s[56:57], s[52:53], s[56:57]             // in0 && in1
_v_add_lshl_u32 v195, v3, v4, 0x1                  // scaleToBpe: accumulate d0 lower and *= bpe into Cin addr
v_cndmask_b32 v195, -1, v195, s[56:57]             // LDD clip if OOB. offset
/* (d1,vc1,d0,vc0)=(3,3,3,0) */
s_mov_b32 s52, 192                                 // coordOffset0 d0=3 vc0=0
_v_add_co_u32 v4, vcc, v0, s52                     // coord0.2: coord0 += d0*sg0*VW + vc0
v_cmp_lt_u32 s[52:53], v4, s[sgprSizeI]            // coord0 < size0
v_cmp_lt_u32 s[56:57], v1, s[sgprSizeJ]            // coord1 < size1
s_and_b64 s[56:57], s[52:53], s[56:57]             // in0 && in1
_v_add_lshl_u32 v198, v3, v4, 0x1                  // scaleToBpe: accumulate d0 lower and *= bpe into Cin addr
v_cndmask_b32 v198, -1, v198, s[56:57]             // LDD clip if OOB. offset
/* (d1,vc1,d0,vc0)=(4,0,0,0) */
_v_add_co_u32 v1, vcc, v1, 37                      // coord1.1: coord1Vgpr += d1*sg1*VW + vc1

/* Fix for UseInitialStridesCD, emitAddressSetupCode */
s_mul_i32 s52, s[sgprStrideC1J], 37                // scale stride
_v_add_u32 v2, v2, s52                             // ROWINC- Move cinRowPtr to next row
s_mul_i32 s52, s[sgprStrideD1J], 37                // scale stride
_v_add_u32 v3, v3, s52                             // Move coutRowPtr to next row
v_cmp_lt_u32 s[52:53], v0, s[sgprSizeI]            // coord0 < size0
v_cmp_lt_u32 s[56:57], v1, s[sgprSizeJ]            // coord1 < size1
s_and_b64 s[56:57], s[52:53], s[56:57]             // in0 && in1
_v_add_lshl_u32 v201, v3, v0, 0x1                  // scaleToBpe: accumulate d0 lower and *= bpe into Cin addr
v_cndmask_b32 v201, -1, v201, s[56:57]             // LDD clip if OOB. offset
/* (d1,vc1,d0,vc0)=(4,0,1,0) */
_v_add_co_u32 v4, vcc, v0, 64                      // coord0.1: coord0 += d0*sg0*VW + vc0
v_cmp_lt_u32 s[52:53], v4, s[sgprSizeI]            // coord0 < size0
v_cmp_lt_u32 s[56:57], v1, s[sgprSizeJ]            // coord1 < size1
s_and_b64 s[56:57], s[52:53], s[56:57]             // in0 && in1
_v_add_lshl_u32 v204, v3, v4, 0x1                  // scaleToBpe: accumulate d0 lower and *= bpe into Cin addr
v_cndmask_b32 v204, -1, v204, s[56:57]             // LDD clip if OOB. offset
/* (d1,vc1,d0,vc0)=(4,0,2,0) */
s_mov_b32 s52, 128                                 // coordOffset0 d0=2 vc0=0
_v_add_co_u32 v4, vcc, v0, s52                     // coord0.2: coord0 += d0*sg0*VW + vc0
v_cmp_lt_u32 s[52:53], v4, s[sgprSizeI]            // coord0 < size0
v_cmp_lt_u32 s[56:57], v1, s[sgprSizeJ]            // coord1 < size1
s_and_b64 s[56:57], s[52:53], s[56:57]             // in0 && in1
_v_add_lshl_u32 v207, v3, v4, 0x1                  // scaleToBpe: accumulate d0 lower and *= bpe into Cin addr
v_cndmask_b32 v207, -1, v207, s[56:57]             // LDD clip if OOB. offset
/* (d1,vc1,d0,vc0)=(4,0,3,0) */
s_mov_b32 s52, 192                                 // coordOffset0 d0=3 vc0=0
_v_add_co_u32 v4, vcc, v0, s52                     // coord0.2: coord0 += d0*sg0*VW + vc0
v_cmp_lt_u32 s[52:53], v4, s[sgprSizeI]            // coord0 < size0
v_cmp_lt_u32 s[56:57], v1, s[sgprSizeJ]            // coord1 < size1
s_and_b64 s[56:57], s[52:53], s[56:57]             // in0 && in1
_v_add_lshl_u32 v210, v3, v4, 0x1                  // scaleToBpe: accumulate d0 lower and *= bpe into Cin addr
v_cndmask_b32 v210, -1, v210, s[56:57]             // LDD clip if OOB. offset
/* (d1,vc1,d0,vc0)=(4,1,0,0) */
_v_add_co_u32 v1, vcc, v1, 1                       // coord1.1: coord1Vgpr += d1*sg1*VW + vc1

/* Fix for UseInitialStridesCD, emitAddressSetupCode */
_v_add_u32 v2, v2, s[sgprStrideC1J]                // ROWINC- Move cinRowPtr to next row
_v_add_u32 v3, v3, s[sgprStrideD1J]                // Move coutRowPtr to next row
v_cmp_lt_u32 s[52:53], v0, s[sgprSizeI]            // coord0 < size0
v_cmp_lt_u32 s[56:57], v1, s[sgprSizeJ]            // coord1 < size1
s_and_b64 s[56:57], s[52:53], s[56:57]             // in0 && in1
_v_add_lshl_u32 v213, v3, v0, 0x1                  // scaleToBpe: accumulate d0 lower and *= bpe into Cin addr
v_cndmask_b32 v213, -1, v213, s[56:57]             // LDD clip if OOB. offset
/* (d1,vc1,d0,vc0)=(4,1,1,0) */
_v_add_co_u32 v4, vcc, v0, 64                      // coord0.1: coord0 += d0*sg0*VW + vc0
v_cmp_lt_u32 s[52:53], v4, s[sgprSizeI]            // coord0 < size0
v_cmp_lt_u32 s[56:57], v1, s[sgprSizeJ]            // coord1 < size1
s_and_b64 s[56:57], s[52:53], s[56:57]             // in0 && in1
_v_add_lshl_u32 v216, v3, v4, 0x1                  // scaleToBpe: accumulate d0 lower and *= bpe into Cin addr
v_cndmask_b32 v216, -1, v216, s[56:57]             // LDD clip if OOB. offset
/* (d1,vc1,d0,vc0)=(4,1,2,0) */
s_mov_b32 s52, 128                                 // coordOffset0 d0=2 vc0=0
_v_add_co_u32 v4, vcc, v0, s52                     // coord0.2: coord0 += d0*sg0*VW + vc0
v_cmp_lt_u32 s[52:53], v4, s[sgprSizeI]            // coord0 < size0
v_cmp_lt_u32 s[56:57], v1, s[sgprSizeJ]            // coord1 < size1
s_and_b64 s[56:57], s[52:53], s[56:57]             // in0 && in1
_v_add_lshl_u32 v219, v3, v4, 0x1                  // scaleToBpe: accumulate d0 lower and *= bpe into Cin addr
v_cndmask_b32 v219, -1, v219, s[56:57]             // LDD clip if OOB. offset
/* (d1,vc1,d0,vc0)=(4,1,3,0) */
s_mov_b32 s52, 192                                 // coordOffset0 d0=3 vc0=0
_v_add_co_u32 v4, vcc, v0, s52                     // coord0.2: coord0 += d0*sg0*VW + vc0
v_cmp_lt_u32 s[52:53], v4, s[sgprSizeI]            // coord0 < size0
v_cmp_lt_u32 s[56:57], v1, s[sgprSizeJ]            // coord1 < size1
s_and_b64 s[56:57], s[52:53], s[56:57]             // in0 && in1
_v_add_lshl_u32 v222, v3, v4, 0x1                  // scaleToBpe: accumulate d0 lower and *= bpe into Cin addr
v_cndmask_b32 v222, -1, v222, s[56:57]             // LDD clip if OOB. offset
/* (d1,vc1,d0,vc0)=(4,2,0,0) */
_v_add_co_u32 v1, vcc, v1, 1                       // coord1.1: coord1Vgpr += d1*sg1*VW + vc1

/* Fix for UseInitialStridesCD, emitAddressSetupCode */
_v_add_u32 v2, v2, s[sgprStrideC1J]                // ROWINC- Move cinRowPtr to next row
_v_add_u32 v3, v3, s[sgprStrideD1J]                // Move coutRowPtr to next row
	;; [unrolled: 34-line block ×3, first 2 shown]
v_cmp_lt_u32 s[52:53], v0, s[sgprSizeI]            // coord0 < size0
v_cmp_lt_u32 s[56:57], v1, s[sgprSizeJ]            // coord1 < size1
s_and_b64 s[56:57], s[52:53], s[56:57]             // in0 && in1
_v_add_lshl_u32 v237, v3, v0, 0x1                  // scaleToBpe: accumulate d0 lower and *= bpe into Cin addr
v_cndmask_b32 v237, -1, v237, s[56:57]             // LDD clip if OOB. offset
/* (d1,vc1,d0,vc0)=(4,3,1,0) */
_v_add_co_u32 v4, vcc, v0, 64                      // coord0.1: coord0 += d0*sg0*VW + vc0
v_cmp_lt_u32 s[52:53], v4, s[sgprSizeI]            // coord0 < size0
v_cmp_lt_u32 s[56:57], v1, s[sgprSizeJ]            // coord1 < size1
s_and_b64 s[56:57], s[52:53], s[56:57]             // in0 && in1
_v_add_lshl_u32 v240, v3, v4, 0x1                  // scaleToBpe: accumulate d0 lower and *= bpe into Cin addr
v_cndmask_b32 v240, -1, v240, s[56:57]             // LDD clip if OOB. offset
/* (d1,vc1,d0,vc0)=(4,3,2,0) */
s_mov_b32 s52, 128                                 // coordOffset0 d0=2 vc0=0
_v_add_co_u32 v4, vcc, v0, s52                     // coord0.2: coord0 += d0*sg0*VW + vc0
v_cmp_lt_u32 s[52:53], v4, s[sgprSizeI]            // coord0 < size0
v_cmp_lt_u32 s[56:57], v1, s[sgprSizeJ]            // coord1 < size1
s_and_b64 s[56:57], s[52:53], s[56:57]             // in0 && in1
_v_add_lshl_u32 v243, v3, v4, 0x1                  // scaleToBpe: accumulate d0 lower and *= bpe into Cin addr
v_cndmask_b32 v243, -1, v243, s[56:57]             // LDD clip if OOB. offset
/* (d1,vc1,d0,vc0)=(4,3,3,0) */
s_mov_b32 s52, 192                                 // coordOffset0 d0=3 vc0=0
_v_add_co_u32 v4, vcc, v0, s52                     // coord0.2: coord0 += d0*sg0*VW + vc0
v_cmp_lt_u32 s[52:53], v4, s[sgprSizeI]            // coord0 < size0
v_cmp_lt_u32 s[56:57], v1, s[sgprSizeJ]            // coord1 < size1
s_and_b64 s[56:57], s[52:53], s[56:57]             // in0 && in1
_v_add_lshl_u32 v246, v3, v4, 0x1                  // scaleToBpe: accumulate d0 lower and *= bpe into Cin addr
v_cndmask_b32 v246, -1, v246, s[56:57]             // LDD clip if OOB. offset
/* (d1,vc1,d0,vc0)=(5,0,0,0) */
_v_add_co_u32 v1, vcc, v1, 5                       // coord1.1: coord1Vgpr += d1*sg1*VW + vc1

/* Fix for UseInitialStridesCD, emitAddressSetupCode */
s_mul_i32 s52, s[sgprStrideC1J], 5                 // scale stride
_v_add_u32 v2, v2, s52                             // ROWINC- Move cinRowPtr to next row
s_mul_i32 s52, s[sgprStrideD1J], 5                 // scale stride
_v_add_u32 v3, v3, s52                             // Move coutRowPtr to next row
v_cmp_lt_u32 s[52:53], v0, s[sgprSizeI]            // coord0 < size0
v_cmp_lt_u32 s[56:57], v1, s[sgprSizeJ]            // coord1 < size1
s_and_b64 s[56:57], s[52:53], s[56:57]             // in0 && in1
_v_add_lshl_u32 v249, v3, v0, 0x1                  // scaleToBpe: accumulate d0 lower and *= bpe into Cin addr
v_cndmask_b32 v249, -1, v249, s[56:57]             // LDD clip if OOB. offset
/* (d1,vc1,d0,vc0)=(5,0,1,0) */
_v_add_co_u32 v4, vcc, v0, 64                      // coord0.1: coord0 += d0*sg0*VW + vc0
v_cmp_lt_u32 s[52:53], v4, s[sgprSizeI]            // coord0 < size0
v_cmp_lt_u32 s[56:57], v1, s[sgprSizeJ]            // coord1 < size1
s_and_b64 s[56:57], s[52:53], s[56:57]             // in0 && in1
_v_add_lshl_u32 v252, v3, v4, 0x1                  // scaleToBpe: accumulate d0 lower and *= bpe into Cin addr
v_cndmask_b32 v252, -1, v252, s[56:57]             // LDD clip if OOB. offset
v_accvgpr_read_b32 v[vgprValuC+8], acc0 // copy acc to vreg[0]
v_accvgpr_read_b32 v[vgprValuC+11], acc16 // copy acc to vreg[1]
v_accvgpr_read_b32 v[vgprValuC+14], acc32 // copy acc to vreg[2]
v_accvgpr_read_b32 v[vgprValuC+17], acc48 // copy acc to vreg[3]
v_accvgpr_read_b32 v[vgprValuC+20], acc1 // copy acc to vreg[4]
v_accvgpr_read_b32 v[vgprValuC+23], acc17 // copy acc to vreg[5]
v_accvgpr_read_b32 v[vgprValuC+26], acc33 // copy acc to vreg[6]
v_accvgpr_read_b32 v[vgprValuC+29], acc49 // copy acc to vreg[7]
v_accvgpr_read_b32 v[vgprValuC+32], acc2 // copy acc to vreg[8]
v_accvgpr_read_b32 v[vgprValuC+35], acc18 // copy acc to vreg[9]
v_accvgpr_read_b32 v[vgprValuC+38], acc34 // copy acc to vreg[10]
v_accvgpr_read_b32 v[vgprValuC+41], acc50 // copy acc to vreg[11]
v_accvgpr_read_b32 v[vgprValuC+44], acc3 // copy acc to vreg[12]
v_accvgpr_read_b32 v[vgprValuC+47], acc19 // copy acc to vreg[13]
v_accvgpr_read_b32 v[vgprValuC+50], acc35 // copy acc to vreg[14]
v_accvgpr_read_b32 v[vgprValuC+53], acc51 // copy acc to vreg[15]
v_accvgpr_read_b32 v[vgprValuC+56], acc4 // copy acc to vreg[16]
v_accvgpr_read_b32 v[vgprValuC+59], acc20 // copy acc to vreg[17]
v_accvgpr_read_b32 v[vgprValuC+62], acc36 // copy acc to vreg[18]
v_accvgpr_read_b32 v[vgprValuC+65], acc52 // copy acc to vreg[19]
v_accvgpr_read_b32 v[vgprValuC+68], acc5 // copy acc to vreg[20]
v_accvgpr_read_b32 v[vgprValuC+71], acc21 // copy acc to vreg[21]
v_accvgpr_read_b32 v[vgprValuC+74], acc37 // copy acc to vreg[22]
v_accvgpr_read_b32 v[vgprValuC+77], acc53 // copy acc to vreg[23]
v_accvgpr_read_b32 v[vgprValuC+80], acc6 // copy acc to vreg[24]
v_accvgpr_read_b32 v[vgprValuC+83], acc22 // copy acc to vreg[25]
v_accvgpr_read_b32 v[vgprValuC+86], acc38 // copy acc to vreg[26]
v_accvgpr_read_b32 v[vgprValuC+89], acc54 // copy acc to vreg[27]
v_accvgpr_read_b32 v[vgprValuC+92], acc7 // copy acc to vreg[28]
v_accvgpr_read_b32 v[vgprValuC+95], acc23 // copy acc to vreg[29]
v_accvgpr_read_b32 v[vgprValuC+98], acc39 // copy acc to vreg[30]
v_accvgpr_read_b32 v[vgprValuC+101], acc55 // copy acc to vreg[31]
v_accvgpr_read_b32 v[vgprValuC+104], acc8 // copy acc to vreg[32]
v_accvgpr_read_b32 v[vgprValuC+107], acc24 // copy acc to vreg[33]
v_accvgpr_read_b32 v[vgprValuC+110], acc40 // copy acc to vreg[34]
v_accvgpr_read_b32 v[vgprValuC+113], acc56 // copy acc to vreg[35]
v_accvgpr_read_b32 v[vgprValuC+116], acc9 // copy acc to vreg[36]
v_accvgpr_read_b32 v[vgprValuC+119], acc25 // copy acc to vreg[37]
v_accvgpr_read_b32 v[vgprValuC+122], acc41 // copy acc to vreg[38]
v_accvgpr_read_b32 v[vgprValuC+125], acc57 // copy acc to vreg[39]
v_accvgpr_read_b32 v[vgprValuC+128], acc10 // copy acc to vreg[40]
v_accvgpr_read_b32 v[vgprValuC+131], acc26 // copy acc to vreg[41]
v_accvgpr_read_b32 v[vgprValuC+134], acc42 // copy acc to vreg[42]
v_accvgpr_read_b32 v[vgprValuC+137], acc58 // copy acc to vreg[43]
v_accvgpr_read_b32 v[vgprValuC+140], acc11 // copy acc to vreg[44]
v_accvgpr_read_b32 v[vgprValuC+143], acc27 // copy acc to vreg[45]
v_accvgpr_read_b32 v[vgprValuC+146], acc43 // copy acc to vreg[46]
v_accvgpr_read_b32 v[vgprValuC+149], acc59 // copy acc to vreg[47]
v_accvgpr_read_b32 v[vgprValuC+152], acc12 // copy acc to vreg[48]
v_accvgpr_read_b32 v[vgprValuC+155], acc28 // copy acc to vreg[49]
v_accvgpr_read_b32 v[vgprValuC+158], acc44 // copy acc to vreg[50]
v_accvgpr_read_b32 v[vgprValuC+161], acc60 // copy acc to vreg[51]
v_accvgpr_read_b32 v[vgprValuC+164], acc13 // copy acc to vreg[52]
v_accvgpr_read_b32 v[vgprValuC+167], acc29 // copy acc to vreg[53]
v_accvgpr_read_b32 v[vgprValuC+170], acc45 // copy acc to vreg[54]
v_accvgpr_read_b32 v[vgprValuC+176], acc61 // copy acc to vreg[55]
v_accvgpr_read_b32 v[vgprValuC+179], acc14 // copy acc to vreg[56]
v_accvgpr_read_b32 v[vgprValuC+182], acc30 // copy acc to vreg[57]
v_accvgpr_read_b32 v[vgprValuC+185], acc46 // copy acc to vreg[58]
v_accvgpr_read_b32 v[vgprValuC+188], acc62 // copy acc to vreg[59]
v_accvgpr_read_b32 v[vgprValuC+191], acc15 // copy acc to vreg[60]
v_accvgpr_read_b32 v[vgprValuC+194], acc31 // copy acc to vreg[61]
v_accvgpr_read_b32 v[vgprValuC+197], acc47 // copy acc to vreg[62]
v_accvgpr_read_b32 v[vgprValuC+200], acc63 // copy acc to vreg[63]
v_accvgpr_read_b32 v[vgprValuC+203], acc64 // copy acc to vreg[64]
v_accvgpr_read_b32 v[vgprValuC+206], acc80 // copy acc to vreg[65]
v_accvgpr_read_b32 v[vgprValuC+209], acc96 // copy acc to vreg[66]
v_accvgpr_read_b32 v[vgprValuC+212], acc112 // copy acc to vreg[67]
v_accvgpr_read_b32 v[vgprValuC+215], acc65 // copy acc to vreg[68]
v_accvgpr_read_b32 v[vgprValuC+218], acc81 // copy acc to vreg[69]
v_accvgpr_read_b32 v[vgprValuC+221], acc97 // copy acc to vreg[70]
v_accvgpr_read_b32 v[vgprValuC+224], acc113 // copy acc to vreg[71]
v_accvgpr_read_b32 v[vgprValuC+227], acc66 // copy acc to vreg[72]
v_accvgpr_read_b32 v[vgprValuC+230], acc82 // copy acc to vreg[73]
v_accvgpr_read_b32 v[vgprValuC+233], acc98 // copy acc to vreg[74]
v_accvgpr_read_b32 v[vgprValuC+236], acc114 // copy acc to vreg[75]
v_accvgpr_read_b32 v[vgprValuC+239], acc67 // copy acc to vreg[76]
v_accvgpr_read_b32 v[vgprValuC+242], acc83 // copy acc to vreg[77]
v_accvgpr_read_b32 v[vgprValuC+245], acc99 // copy acc to vreg[78]
v_accvgpr_read_b32 v[vgprValuC+248], acc115 // copy acc to vreg[79]
v_accvgpr_read_b32 v[vgprValuC+251], acc68 // copy acc to vreg[80]
v_accvgpr_read_b32 v[vgprValuC+254], acc84 // copy acc to vreg[81]
s_nop 1                                            // 2 wait states required before reading vgpr

/* rC *= alpha batchElements=[(0, 0, 0, 0), (0, 1, 0, 0), (0, 2, 0, 0), (0, 3, 0, 0), (0, 0, 1, 0), (0, 1, 1, 0), (0, 2, 1, 0), (0, 3, 1, 0), (0, 0, 2, 0), (0, 1, 2, 0), (0, 2, 2, 0), (0, 3, 2, 0), (0, 0, 3, 0), (0, 1, 3, 0), (0, 2, 3, 0), (0, 3, 3, 0), (1, 0, 0, 0), (1, 1, 0, 0), (1, 2, 0, 0), (1, 3, 0, 0), (1, 0, 1, 0), (1, 1, 1, 0), (1, 2, 1, 0), (1, 3, 1, 0), (1, 0, 2, 0), (1, 1, 2, 0), (1, 2, 2, 0), (1, 3, 2, 0), (1, 0, 3, 0), (1, 1, 3, 0), (1, 2, 3, 0), (1, 3, 3, 0), (2, 0, 0, 0), (2, 1, 0, 0), (2, 2, 0, 0), (2, 3, 0, 0), (2, 0, 1, 0), (2, 1, 1, 0), (2, 2, 1, 0), (2, 3, 1, 0), (2, 0, 2, 0), (2, 1, 2, 0), (2, 2, 2, 0), (2, 3, 2, 0), (2, 0, 3, 0), (2, 1, 3, 0), (2, 2, 3, 0), (2, 3, 3, 0), (3, 0, 0, 0), (3, 1, 0, 0), (3, 2, 0, 0), (3, 3, 0, 0), (3, 0, 1, 0), (3, 1, 1, 0), (3, 2, 1, 0), (3, 3, 1, 0), (3, 0, 2, 0), (3, 1, 2, 0), (3, 2, 2, 0), (3, 3, 2, 0), (3, 0, 3, 0), (3, 1, 3, 0), (3, 2, 3, 0), (3, 3, 3, 0), (4, 0, 0, 0), (4, 1, 0, 0), (4, 2, 0, 0), (4, 3, 0, 0), (4, 0, 1, 0), (4, 1, 1, 0), (4, 2, 1, 0), (4, 3, 1, 0), (4, 0, 2, 0), (4, 1, 2, 0), (4, 2, 2, 0), (4, 3, 2, 0), (4, 0, 3, 0), (4, 1, 3, 0), (4, 2, 3, 0), (4, 3, 3, 0), (5, 0, 0, 0), (5, 1, 0, 0)] */
v_mul_f32 v[vgprValuC+8], s[sgprAlpha], v[vgprValuC+8] // *= alpha
v_mul_f32 v[vgprValuC+11], s[sgprAlpha], v[vgprValuC+11] // *= alpha
	;; [unrolled: 1-line block ×82, first 2 shown]

/* apply mask, calc new C and issue writes */
v_cvt_f16_f32 v[vgprValuC+8], v[vgprValuC+8]       // convert C to fp16
v_cvt_f16_f32 v[vgprValuC+11], v[vgprValuC+11]     // convert C to fp16
v_cvt_f16_f32 v[vgprValuC+14], v[vgprValuC+14]     // convert C to fp16
	;; [unrolled: 1-line block ×30, first 2 shown]
v_cvt_f16_f32 v[vgprValuC+101], v[vgprValuC+101]   // convert C to fp16
v_cvt_f16_f32 v[vgprValuC+104], v[vgprValuC+104]   // convert C to fp16
v_cvt_f16_f32 v[vgprValuC+107], v[vgprValuC+107]   // convert C to fp16
v_cvt_f16_f32 v[vgprValuC+110], v[vgprValuC+110]   // convert C to fp16
v_cvt_f16_f32 v[vgprValuC+113], v[vgprValuC+113]   // convert C to fp16
v_cvt_f16_f32 v[vgprValuC+116], v[vgprValuC+116]   // convert C to fp16
v_cvt_f16_f32 v[vgprValuC+119], v[vgprValuC+119]   // convert C to fp16
v_cvt_f16_f32 v[vgprValuC+122], v[vgprValuC+122]   // convert C to fp16
v_cvt_f16_f32 v[vgprValuC+125], v[vgprValuC+125]   // convert C to fp16
v_cvt_f16_f32 v[vgprValuC+128], v[vgprValuC+128]   // convert C to fp16
v_cvt_f16_f32 v[vgprValuC+131], v[vgprValuC+131]   // convert C to fp16
v_cvt_f16_f32 v[vgprValuC+134], v[vgprValuC+134]   // convert C to fp16
v_cvt_f16_f32 v[vgprValuC+137], v[vgprValuC+137]   // convert C to fp16
v_cvt_f16_f32 v[vgprValuC+140], v[vgprValuC+140]   // convert C to fp16
v_cvt_f16_f32 v[vgprValuC+143], v[vgprValuC+143]   // convert C to fp16
v_cvt_f16_f32 v[vgprValuC+146], v[vgprValuC+146]   // convert C to fp16
v_cvt_f16_f32 v[vgprValuC+149], v[vgprValuC+149]   // convert C to fp16
v_cvt_f16_f32 v[vgprValuC+152], v[vgprValuC+152]   // convert C to fp16
v_cvt_f16_f32 v[vgprValuC+155], v[vgprValuC+155]   // convert C to fp16
v_cvt_f16_f32 v[vgprValuC+158], v[vgprValuC+158]   // convert C to fp16
v_cvt_f16_f32 v[vgprValuC+161], v[vgprValuC+161]   // convert C to fp16
v_cvt_f16_f32 v[vgprValuC+164], v[vgprValuC+164]   // convert C to fp16
v_cvt_f16_f32 v[vgprValuC+167], v[vgprValuC+167]   // convert C to fp16
v_cvt_f16_f32 v[vgprValuC+170], v[vgprValuC+170]   // convert C to fp16
v_cvt_f16_f32 v[vgprValuC+176], v[vgprValuC+176]   // convert C to fp16
v_cvt_f16_f32 v[vgprValuC+179], v[vgprValuC+179]   // convert C to fp16
v_cvt_f16_f32 v[vgprValuC+182], v[vgprValuC+182]   // convert C to fp16
v_cvt_f16_f32 v[vgprValuC+185], v[vgprValuC+185]   // convert C to fp16
v_cvt_f16_f32 v[vgprValuC+188], v[vgprValuC+188]   // convert C to fp16
v_cvt_f16_f32 v[vgprValuC+191], v[vgprValuC+191]   // convert C to fp16
v_cvt_f16_f32 v[vgprValuC+194], v[vgprValuC+194]   // convert C to fp16
v_cvt_f16_f32 v[vgprValuC+197], v[vgprValuC+197]   // convert C to fp16
v_cvt_f16_f32 v[vgprValuC+200], v[vgprValuC+200]   // convert C to fp16
v_cvt_f16_f32 v[vgprValuC+203], v[vgprValuC+203]   // convert C to fp16
v_cvt_f16_f32 v[vgprValuC+206], v[vgprValuC+206]   // convert C to fp16
v_cvt_f16_f32 v[vgprValuC+209], v[vgprValuC+209]   // convert C to fp16
v_cvt_f16_f32 v[vgprValuC+212], v[vgprValuC+212]   // convert C to fp16
v_cvt_f16_f32 v[vgprValuC+215], v[vgprValuC+215]   // convert C to fp16
v_cvt_f16_f32 v[vgprValuC+218], v[vgprValuC+218]   // convert C to fp16
v_cvt_f16_f32 v[vgprValuC+221], v[vgprValuC+221]   // convert C to fp16
v_cvt_f16_f32 v[vgprValuC+224], v[vgprValuC+224]   // convert C to fp16
v_cvt_f16_f32 v[vgprValuC+227], v[vgprValuC+227]   // convert C to fp16
v_cvt_f16_f32 v[vgprValuC+230], v[vgprValuC+230]   // convert C to fp16
v_cvt_f16_f32 v[vgprValuC+233], v[vgprValuC+233]   // convert C to fp16
v_cvt_f16_f32 v[vgprValuC+236], v[vgprValuC+236]   // convert C to fp16
v_cvt_f16_f32 v[vgprValuC+239], v[vgprValuC+239]   // convert C to fp16
v_cvt_f16_f32 v[vgprValuC+242], v[vgprValuC+242]   // convert C to fp16
v_cvt_f16_f32 v[vgprValuC+245], v[vgprValuC+245]   // convert C to fp16
v_cvt_f16_f32 v[vgprValuC+248], v[vgprValuC+248]   // convert C to fp16
v_cvt_f16_f32 v[vgprValuC+251], v[vgprValuC+251]   // convert C to fp16
v_cvt_f16_f32 v[vgprValuC+254], v[vgprValuC+254]   // convert C to fp16
_buffer_store_b16 v8, v6, s[sgprSrdD:sgprSrdD+3], 0, offen, offset:0,  sc0 sc1 // store D
_buffer_store_b16 v11, v9, s[sgprSrdD:sgprSrdD+3], 0, offen, offset:0,  sc0 sc1 // store D
	;; [unrolled: 1-line block ×82, first 2 shown]
s_nop 0                                            // 1 wait state required when next inst writes vgprs held by previous dwordx4 store inst
/* optSingleColVgpr=0 optSharedColVgpr=0 optSGPRUsage=BufferLoad_Edge_Mask optSrdIncForRow=0 */
s_sleep 3 // optimization: sync and wait
s_barrier

/******************************************/
/* Global Write Alpha Edge Batch #1 (d1,d0,vc1,vc0) = */
/*    (5,2,0,0:vw1); (5,3,0,0:vw1); (5,0,1,0:vw1); (5,1,1,0:vw1); (5,2,1,0:vw1); (5,3,1,0:vw1); (5,0,2,0:vw1); (5,1,2,0:vw1); (5,2,2,0:vw1); (5,3,2,0:vw1); (5,0,3,0:vw1); (5,1,3,0:vw1); (5,2,3,0:vw1); (5,3,3,0:vw1); (6,0,0,0:vw1); (6,1,0,0:vw1); (6,2,0,0:vw1); (6,3,0,0:vw1); (6,0,1,0:vw1); (6,1,1,0:vw1); (6,2,1,0:vw1); (6,3,1,0:vw1); (6,0,2,0:vw1); (6,1,2,0:vw1); (6,2,2,0:vw1); (6,3,2,0:vw1); (6,0,3,0:vw1); (6,1,3,0:vw1); (6,2,3,0:vw1); (6,3,3,0:vw1); (7,0,0,0:vw1); (7,1,0,0:vw1); (7,2,0,0:vw1); (7,3,0,0:vw1); (7,0,1,0:vw1); (7,1,1,0:vw1); (7,2,1,0:vw1); (7,3,1,0:vw1); (7,0,2,0:vw1); (7,1,2,0:vw1); (7,2,2,0:vw1); (7,3,2,0:vw1); (7,0,3,0:vw1); (7,1,3,0:vw1); (7,2,3,0:vw1); (7,3,3,0:vw1); (8,0,0,0:vw1); (8,1,0,0:vw1); (8,2,0,0:vw1); (8,3,0,0:vw1); (8,0,1,0:vw1); (8,1,1,0:vw1); (8,2,1,0:vw1); (8,3,1,0:vw1); (8,0,2,0:vw1); (8,1,2,0:vw1); (8,2,2,0:vw1); (8,3,2,0:vw1); (8,0,3,0:vw1); (8,1,3,0:vw1); (8,2,3,0:vw1); (8,3,3,0:vw1); (9,0,0,0:vw1); (9,1,0,0:vw1); (9,2,0,0:vw1); (9,3,0,0:vw1); (9,0,1,0:vw1); (9,1,1,0:vw1); (9,2,1,0:vw1); (9,3,1,0:vw1); (9,0,2,0:vw1); (9,1,2,0:vw1); (9,2,2,0:vw1); (9,3,2,0:vw1); (9,0,3,0:vw1); (9,1,3,0:vw1); (9,2,3,0:vw1); (9,3,3,0:vw1); (10,0,0,0:vw1); (10,1,0,0:vw1); (10,2,0,0:vw1); (10,3,0,0:vw1) */
/******************************************/

/* calc coords, apply mask, and issue loads (if necessary) */
/* (d1,vc1,d0,vc0)=(5,0,2,0) */
s_mov_b32 s52, 128                                 // coordOffset0 d0=2 vc0=0
_v_add_co_u32 v4, vcc, v0, s52                     // coord0.2: coord0 += d0*sg0*VW + vc0
v_cmp_lt_u32 s[52:53], v4, s[sgprSizeI]            // coord0 < size0
v_cmp_lt_u32 s[56:57], v1, s[sgprSizeJ]            // coord1 < size1
s_and_b64 s[56:57], s[52:53], s[56:57]             // in0 && in1
_v_add_lshl_u32 v6, v3, v4, 0x1                    // scaleToBpe: accumulate d0 lower and *= bpe into Cin addr
v_cndmask_b32 v6, -1, v6, s[56:57]                 // LDD clip if OOB. offset
/* (d1,vc1,d0,vc0)=(5,0,3,0) */
s_mov_b32 s52, 192                                 // coordOffset0 d0=3 vc0=0
_v_add_co_u32 v4, vcc, v0, s52                     // coord0.2: coord0 += d0*sg0*VW + vc0
v_cmp_lt_u32 s[52:53], v4, s[sgprSizeI]            // coord0 < size0
v_cmp_lt_u32 s[56:57], v1, s[sgprSizeJ]            // coord1 < size1
s_and_b64 s[56:57], s[52:53], s[56:57]             // in0 && in1
_v_add_lshl_u32 v9, v3, v4, 0x1                    // scaleToBpe: accumulate d0 lower and *= bpe into Cin addr
v_cndmask_b32 v9, -1, v9, s[56:57]                 // LDD clip if OOB. offset
/* (d1,vc1,d0,vc0)=(5,1,0,0) */
_v_add_co_u32 v1, vcc, v1, 1                       // coord1.1: coord1Vgpr += d1*sg1*VW + vc1

/* Fix for UseInitialStridesCD, emitAddressSetupCode */
_v_add_u32 v2, v2, s[sgprStrideC1J]                // ROWINC- Move cinRowPtr to next row
_v_add_u32 v3, v3, s[sgprStrideD1J]                // Move coutRowPtr to next row
v_cmp_lt_u32 s[52:53], v0, s[sgprSizeI]            // coord0 < size0
v_cmp_lt_u32 s[56:57], v1, s[sgprSizeJ]            // coord1 < size1
s_and_b64 s[56:57], s[52:53], s[56:57]             // in0 && in1
_v_add_lshl_u32 v12, v3, v0, 0x1                   // scaleToBpe: accumulate d0 lower and *= bpe into Cin addr
v_cndmask_b32 v12, -1, v12, s[56:57]               // LDD clip if OOB. offset
/* (d1,vc1,d0,vc0)=(5,1,1,0) */
_v_add_co_u32 v4, vcc, v0, 64                      // coord0.1: coord0 += d0*sg0*VW + vc0
v_cmp_lt_u32 s[52:53], v4, s[sgprSizeI]            // coord0 < size0
v_cmp_lt_u32 s[56:57], v1, s[sgprSizeJ]            // coord1 < size1
s_and_b64 s[56:57], s[52:53], s[56:57]             // in0 && in1
_v_add_lshl_u32 v15, v3, v4, 0x1                   // scaleToBpe: accumulate d0 lower and *= bpe into Cin addr
v_cndmask_b32 v15, -1, v15, s[56:57]               // LDD clip if OOB. offset
/* (d1,vc1,d0,vc0)=(5,1,2,0) */
s_mov_b32 s52, 128                                 // coordOffset0 d0=2 vc0=0
_v_add_co_u32 v4, vcc, v0, s52                     // coord0.2: coord0 += d0*sg0*VW + vc0
v_cmp_lt_u32 s[52:53], v4, s[sgprSizeI]            // coord0 < size0
v_cmp_lt_u32 s[56:57], v1, s[sgprSizeJ]            // coord1 < size1
s_and_b64 s[56:57], s[52:53], s[56:57]             // in0 && in1
_v_add_lshl_u32 v18, v3, v4, 0x1                   // scaleToBpe: accumulate d0 lower and *= bpe into Cin addr
v_cndmask_b32 v18, -1, v18, s[56:57]               // LDD clip if OOB. offset
/* (d1,vc1,d0,vc0)=(5,1,3,0) */
s_mov_b32 s52, 192                                 // coordOffset0 d0=3 vc0=0
_v_add_co_u32 v4, vcc, v0, s52                     // coord0.2: coord0 += d0*sg0*VW + vc0
v_cmp_lt_u32 s[52:53], v4, s[sgprSizeI]            // coord0 < size0
v_cmp_lt_u32 s[56:57], v1, s[sgprSizeJ]            // coord1 < size1
s_and_b64 s[56:57], s[52:53], s[56:57]             // in0 && in1
_v_add_lshl_u32 v21, v3, v4, 0x1                   // scaleToBpe: accumulate d0 lower and *= bpe into Cin addr
v_cndmask_b32 v21, -1, v21, s[56:57]               // LDD clip if OOB. offset
/* (d1,vc1,d0,vc0)=(5,2,0,0) */
_v_add_co_u32 v1, vcc, v1, 1                       // coord1.1: coord1Vgpr += d1*sg1*VW + vc1

/* Fix for UseInitialStridesCD, emitAddressSetupCode */
_v_add_u32 v2, v2, s[sgprStrideC1J]                // ROWINC- Move cinRowPtr to next row
_v_add_u32 v3, v3, s[sgprStrideD1J]                // Move coutRowPtr to next row
v_cmp_lt_u32 s[52:53], v0, s[sgprSizeI]            // coord0 < size0
v_cmp_lt_u32 s[56:57], v1, s[sgprSizeJ]            // coord1 < size1
s_and_b64 s[56:57], s[52:53], s[56:57]             // in0 && in1
_v_add_lshl_u32 v24, v3, v0, 0x1                   // scaleToBpe: accumulate d0 lower and *= bpe into Cin addr
v_cndmask_b32 v24, -1, v24, s[56:57]               // LDD clip if OOB. offset
/* (d1,vc1,d0,vc0)=(5,2,1,0) */
_v_add_co_u32 v4, vcc, v0, 64                      // coord0.1: coord0 += d0*sg0*VW + vc0
v_cmp_lt_u32 s[52:53], v4, s[sgprSizeI]            // coord0 < size0
v_cmp_lt_u32 s[56:57], v1, s[sgprSizeJ]            // coord1 < size1
s_and_b64 s[56:57], s[52:53], s[56:57]             // in0 && in1
_v_add_lshl_u32 v27, v3, v4, 0x1                   // scaleToBpe: accumulate d0 lower and *= bpe into Cin addr
v_cndmask_b32 v27, -1, v27, s[56:57]               // LDD clip if OOB. offset
/* (d1,vc1,d0,vc0)=(5,2,2,0) */
s_mov_b32 s52, 128                                 // coordOffset0 d0=2 vc0=0
_v_add_co_u32 v4, vcc, v0, s52                     // coord0.2: coord0 += d0*sg0*VW + vc0
v_cmp_lt_u32 s[52:53], v4, s[sgprSizeI]            // coord0 < size0
v_cmp_lt_u32 s[56:57], v1, s[sgprSizeJ]            // coord1 < size1
s_and_b64 s[56:57], s[52:53], s[56:57]             // in0 && in1
_v_add_lshl_u32 v30, v3, v4, 0x1                   // scaleToBpe: accumulate d0 lower and *= bpe into Cin addr
v_cndmask_b32 v30, -1, v30, s[56:57]               // LDD clip if OOB. offset
/* (d1,vc1,d0,vc0)=(5,2,3,0) */
s_mov_b32 s52, 192                                 // coordOffset0 d0=3 vc0=0
_v_add_co_u32 v4, vcc, v0, s52                     // coord0.2: coord0 += d0*sg0*VW + vc0
v_cmp_lt_u32 s[52:53], v4, s[sgprSizeI]            // coord0 < size0
v_cmp_lt_u32 s[56:57], v1, s[sgprSizeJ]            // coord1 < size1
s_and_b64 s[56:57], s[52:53], s[56:57]             // in0 && in1
_v_add_lshl_u32 v33, v3, v4, 0x1                   // scaleToBpe: accumulate d0 lower and *= bpe into Cin addr
v_cndmask_b32 v33, -1, v33, s[56:57]               // LDD clip if OOB. offset
/* (d1,vc1,d0,vc0)=(5,3,0,0) */
_v_add_co_u32 v1, vcc, v1, 1                       // coord1.1: coord1Vgpr += d1*sg1*VW + vc1

/* Fix for UseInitialStridesCD, emitAddressSetupCode */
_v_add_u32 v2, v2, s[sgprStrideC1J]                // ROWINC- Move cinRowPtr to next row
_v_add_u32 v3, v3, s[sgprStrideD1J]                // Move coutRowPtr to next row
v_cmp_lt_u32 s[52:53], v0, s[sgprSizeI]            // coord0 < size0
v_cmp_lt_u32 s[56:57], v1, s[sgprSizeJ]            // coord1 < size1
s_and_b64 s[56:57], s[52:53], s[56:57]             // in0 && in1
_v_add_lshl_u32 v36, v3, v0, 0x1                   // scaleToBpe: accumulate d0 lower and *= bpe into Cin addr
v_cndmask_b32 v36, -1, v36, s[56:57]               // LDD clip if OOB. offset
/* (d1,vc1,d0,vc0)=(5,3,1,0) */
_v_add_co_u32 v4, vcc, v0, 64                      // coord0.1: coord0 += d0*sg0*VW + vc0
v_cmp_lt_u32 s[52:53], v4, s[sgprSizeI]            // coord0 < size0
v_cmp_lt_u32 s[56:57], v1, s[sgprSizeJ]            // coord1 < size1
s_and_b64 s[56:57], s[52:53], s[56:57]             // in0 && in1
_v_add_lshl_u32 v39, v3, v4, 0x1                   // scaleToBpe: accumulate d0 lower and *= bpe into Cin addr
v_cndmask_b32 v39, -1, v39, s[56:57]               // LDD clip if OOB. offset
/* (d1,vc1,d0,vc0)=(5,3,2,0) */
s_mov_b32 s52, 128                                 // coordOffset0 d0=2 vc0=0
_v_add_co_u32 v4, vcc, v0, s52                     // coord0.2: coord0 += d0*sg0*VW + vc0
v_cmp_lt_u32 s[52:53], v4, s[sgprSizeI]            // coord0 < size0
v_cmp_lt_u32 s[56:57], v1, s[sgprSizeJ]            // coord1 < size1
s_and_b64 s[56:57], s[52:53], s[56:57]             // in0 && in1
_v_add_lshl_u32 v42, v3, v4, 0x1                   // scaleToBpe: accumulate d0 lower and *= bpe into Cin addr
v_cndmask_b32 v42, -1, v42, s[56:57]               // LDD clip if OOB. offset
/* (d1,vc1,d0,vc0)=(5,3,3,0) */
s_mov_b32 s52, 192                                 // coordOffset0 d0=3 vc0=0
_v_add_co_u32 v4, vcc, v0, s52                     // coord0.2: coord0 += d0*sg0*VW + vc0
v_cmp_lt_u32 s[52:53], v4, s[sgprSizeI]            // coord0 < size0
v_cmp_lt_u32 s[56:57], v1, s[sgprSizeJ]            // coord1 < size1
s_and_b64 s[56:57], s[52:53], s[56:57]             // in0 && in1
_v_add_lshl_u32 v45, v3, v4, 0x1                   // scaleToBpe: accumulate d0 lower and *= bpe into Cin addr
v_cndmask_b32 v45, -1, v45, s[56:57]               // LDD clip if OOB. offset
/* (d1,vc1,d0,vc0)=(6,0,0,0) */
_v_add_co_u32 v1, vcc, v1, 5                       // coord1.1: coord1Vgpr += d1*sg1*VW + vc1

/* Fix for UseInitialStridesCD, emitAddressSetupCode */
s_mul_i32 s52, s[sgprStrideC1J], 5                 // scale stride
_v_add_u32 v2, v2, s52                             // ROWINC- Move cinRowPtr to next row
s_mul_i32 s52, s[sgprStrideD1J], 5                 // scale stride
_v_add_u32 v3, v3, s52                             // Move coutRowPtr to next row
v_cmp_lt_u32 s[52:53], v0, s[sgprSizeI]            // coord0 < size0
v_cmp_lt_u32 s[56:57], v1, s[sgprSizeJ]            // coord1 < size1
s_and_b64 s[56:57], s[52:53], s[56:57]             // in0 && in1
_v_add_lshl_u32 v48, v3, v0, 0x1                   // scaleToBpe: accumulate d0 lower and *= bpe into Cin addr
v_cndmask_b32 v48, -1, v48, s[56:57]               // LDD clip if OOB. offset
/* (d1,vc1,d0,vc0)=(6,0,1,0) */
_v_add_co_u32 v4, vcc, v0, 64                      // coord0.1: coord0 += d0*sg0*VW + vc0
v_cmp_lt_u32 s[52:53], v4, s[sgprSizeI]            // coord0 < size0
v_cmp_lt_u32 s[56:57], v1, s[sgprSizeJ]            // coord1 < size1
s_and_b64 s[56:57], s[52:53], s[56:57]             // in0 && in1
_v_add_lshl_u32 v51, v3, v4, 0x1                   // scaleToBpe: accumulate d0 lower and *= bpe into Cin addr
v_cndmask_b32 v51, -1, v51, s[56:57]               // LDD clip if OOB. offset
/* (d1,vc1,d0,vc0)=(6,0,2,0) */
s_mov_b32 s52, 128                                 // coordOffset0 d0=2 vc0=0
_v_add_co_u32 v4, vcc, v0, s52                     // coord0.2: coord0 += d0*sg0*VW + vc0
v_cmp_lt_u32 s[52:53], v4, s[sgprSizeI]            // coord0 < size0
v_cmp_lt_u32 s[56:57], v1, s[sgprSizeJ]            // coord1 < size1
s_and_b64 s[56:57], s[52:53], s[56:57]             // in0 && in1
_v_add_lshl_u32 v54, v3, v4, 0x1                   // scaleToBpe: accumulate d0 lower and *= bpe into Cin addr
v_cndmask_b32 v54, -1, v54, s[56:57]               // LDD clip if OOB. offset
/* (d1,vc1,d0,vc0)=(6,0,3,0) */
s_mov_b32 s52, 192                                 // coordOffset0 d0=3 vc0=0
_v_add_co_u32 v4, vcc, v0, s52                     // coord0.2: coord0 += d0*sg0*VW + vc0
v_cmp_lt_u32 s[52:53], v4, s[sgprSizeI]            // coord0 < size0
v_cmp_lt_u32 s[56:57], v1, s[sgprSizeJ]            // coord1 < size1
s_and_b64 s[56:57], s[52:53], s[56:57]             // in0 && in1
_v_add_lshl_u32 v57, v3, v4, 0x1                   // scaleToBpe: accumulate d0 lower and *= bpe into Cin addr
v_cndmask_b32 v57, -1, v57, s[56:57]               // LDD clip if OOB. offset
/* (d1,vc1,d0,vc0)=(6,1,0,0) */
_v_add_co_u32 v1, vcc, v1, 1                       // coord1.1: coord1Vgpr += d1*sg1*VW + vc1

/* Fix for UseInitialStridesCD, emitAddressSetupCode */
_v_add_u32 v2, v2, s[sgprStrideC1J]                // ROWINC- Move cinRowPtr to next row
_v_add_u32 v3, v3, s[sgprStrideD1J]                // Move coutRowPtr to next row
v_cmp_lt_u32 s[52:53], v0, s[sgprSizeI]            // coord0 < size0
v_cmp_lt_u32 s[56:57], v1, s[sgprSizeJ]            // coord1 < size1
s_and_b64 s[56:57], s[52:53], s[56:57]             // in0 && in1
_v_add_lshl_u32 v60, v3, v0, 0x1                   // scaleToBpe: accumulate d0 lower and *= bpe into Cin addr
v_cndmask_b32 v60, -1, v60, s[56:57]               // LDD clip if OOB. offset
/* (d1,vc1,d0,vc0)=(6,1,1,0) */
_v_add_co_u32 v4, vcc, v0, 64                      // coord0.1: coord0 += d0*sg0*VW + vc0
v_cmp_lt_u32 s[52:53], v4, s[sgprSizeI]            // coord0 < size0
v_cmp_lt_u32 s[56:57], v1, s[sgprSizeJ]            // coord1 < size1
s_and_b64 s[56:57], s[52:53], s[56:57]             // in0 && in1
_v_add_lshl_u32 v63, v3, v4, 0x1                   // scaleToBpe: accumulate d0 lower and *= bpe into Cin addr
v_cndmask_b32 v63, -1, v63, s[56:57]               // LDD clip if OOB. offset
/* (d1,vc1,d0,vc0)=(6,1,2,0) */
s_mov_b32 s52, 128                                 // coordOffset0 d0=2 vc0=0
_v_add_co_u32 v4, vcc, v0, s52                     // coord0.2: coord0 += d0*sg0*VW + vc0
v_cmp_lt_u32 s[52:53], v4, s[sgprSizeI]            // coord0 < size0
v_cmp_lt_u32 s[56:57], v1, s[sgprSizeJ]            // coord1 < size1
s_and_b64 s[56:57], s[52:53], s[56:57]             // in0 && in1
_v_add_lshl_u32 v66, v3, v4, 0x1                   // scaleToBpe: accumulate d0 lower and *= bpe into Cin addr
v_cndmask_b32 v66, -1, v66, s[56:57]               // LDD clip if OOB. offset
/* (d1,vc1,d0,vc0)=(6,1,3,0) */
s_mov_b32 s52, 192                                 // coordOffset0 d0=3 vc0=0
_v_add_co_u32 v4, vcc, v0, s52                     // coord0.2: coord0 += d0*sg0*VW + vc0
v_cmp_lt_u32 s[52:53], v4, s[sgprSizeI]            // coord0 < size0
v_cmp_lt_u32 s[56:57], v1, s[sgprSizeJ]            // coord1 < size1
s_and_b64 s[56:57], s[52:53], s[56:57]             // in0 && in1
_v_add_lshl_u32 v69, v3, v4, 0x1                   // scaleToBpe: accumulate d0 lower and *= bpe into Cin addr
v_cndmask_b32 v69, -1, v69, s[56:57]               // LDD clip if OOB. offset
/* (d1,vc1,d0,vc0)=(6,2,0,0) */
_v_add_co_u32 v1, vcc, v1, 1                       // coord1.1: coord1Vgpr += d1*sg1*VW + vc1

/* Fix for UseInitialStridesCD, emitAddressSetupCode */
_v_add_u32 v2, v2, s[sgprStrideC1J]                // ROWINC- Move cinRowPtr to next row
_v_add_u32 v3, v3, s[sgprStrideD1J]                // Move coutRowPtr to next row
	;; [unrolled: 34-line block ×3, first 2 shown]
v_cmp_lt_u32 s[52:53], v0, s[sgprSizeI]            // coord0 < size0
v_cmp_lt_u32 s[56:57], v1, s[sgprSizeJ]            // coord1 < size1
s_and_b64 s[56:57], s[52:53], s[56:57]             // in0 && in1
_v_add_lshl_u32 v84, v3, v0, 0x1                   // scaleToBpe: accumulate d0 lower and *= bpe into Cin addr
v_cndmask_b32 v84, -1, v84, s[56:57]               // LDD clip if OOB. offset
/* (d1,vc1,d0,vc0)=(6,3,1,0) */
_v_add_co_u32 v4, vcc, v0, 64                      // coord0.1: coord0 += d0*sg0*VW + vc0
v_cmp_lt_u32 s[52:53], v4, s[sgprSizeI]            // coord0 < size0
v_cmp_lt_u32 s[56:57], v1, s[sgprSizeJ]            // coord1 < size1
s_and_b64 s[56:57], s[52:53], s[56:57]             // in0 && in1
_v_add_lshl_u32 v87, v3, v4, 0x1                   // scaleToBpe: accumulate d0 lower and *= bpe into Cin addr
v_cndmask_b32 v87, -1, v87, s[56:57]               // LDD clip if OOB. offset
/* (d1,vc1,d0,vc0)=(6,3,2,0) */
s_mov_b32 s52, 128                                 // coordOffset0 d0=2 vc0=0
_v_add_co_u32 v4, vcc, v0, s52                     // coord0.2: coord0 += d0*sg0*VW + vc0
v_cmp_lt_u32 s[52:53], v4, s[sgprSizeI]            // coord0 < size0
v_cmp_lt_u32 s[56:57], v1, s[sgprSizeJ]            // coord1 < size1
s_and_b64 s[56:57], s[52:53], s[56:57]             // in0 && in1
_v_add_lshl_u32 v90, v3, v4, 0x1                   // scaleToBpe: accumulate d0 lower and *= bpe into Cin addr
v_cndmask_b32 v90, -1, v90, s[56:57]               // LDD clip if OOB. offset
/* (d1,vc1,d0,vc0)=(6,3,3,0) */
s_mov_b32 s52, 192                                 // coordOffset0 d0=3 vc0=0
_v_add_co_u32 v4, vcc, v0, s52                     // coord0.2: coord0 += d0*sg0*VW + vc0
v_cmp_lt_u32 s[52:53], v4, s[sgprSizeI]            // coord0 < size0
v_cmp_lt_u32 s[56:57], v1, s[sgprSizeJ]            // coord1 < size1
s_and_b64 s[56:57], s[52:53], s[56:57]             // in0 && in1
_v_add_lshl_u32 v93, v3, v4, 0x1                   // scaleToBpe: accumulate d0 lower and *= bpe into Cin addr
v_cndmask_b32 v93, -1, v93, s[56:57]               // LDD clip if OOB. offset
/* (d1,vc1,d0,vc0)=(7,0,0,0) */
_v_add_co_u32 v1, vcc, v1, 5                       // coord1.1: coord1Vgpr += d1*sg1*VW + vc1

/* Fix for UseInitialStridesCD, emitAddressSetupCode */
s_mul_i32 s52, s[sgprStrideC1J], 5                 // scale stride
_v_add_u32 v2, v2, s52                             // ROWINC- Move cinRowPtr to next row
s_mul_i32 s52, s[sgprStrideD1J], 5                 // scale stride
_v_add_u32 v3, v3, s52                             // Move coutRowPtr to next row
v_cmp_lt_u32 s[52:53], v0, s[sgprSizeI]            // coord0 < size0
v_cmp_lt_u32 s[56:57], v1, s[sgprSizeJ]            // coord1 < size1
s_and_b64 s[56:57], s[52:53], s[56:57]             // in0 && in1
_v_add_lshl_u32 v96, v3, v0, 0x1                   // scaleToBpe: accumulate d0 lower and *= bpe into Cin addr
v_cndmask_b32 v96, -1, v96, s[56:57]               // LDD clip if OOB. offset
/* (d1,vc1,d0,vc0)=(7,0,1,0) */
_v_add_co_u32 v4, vcc, v0, 64                      // coord0.1: coord0 += d0*sg0*VW + vc0
v_cmp_lt_u32 s[52:53], v4, s[sgprSizeI]            // coord0 < size0
v_cmp_lt_u32 s[56:57], v1, s[sgprSizeJ]            // coord1 < size1
s_and_b64 s[56:57], s[52:53], s[56:57]             // in0 && in1
_v_add_lshl_u32 v99, v3, v4, 0x1                   // scaleToBpe: accumulate d0 lower and *= bpe into Cin addr
v_cndmask_b32 v99, -1, v99, s[56:57]               // LDD clip if OOB. offset
/* (d1,vc1,d0,vc0)=(7,0,2,0) */
s_mov_b32 s52, 128                                 // coordOffset0 d0=2 vc0=0
_v_add_co_u32 v4, vcc, v0, s52                     // coord0.2: coord0 += d0*sg0*VW + vc0
v_cmp_lt_u32 s[52:53], v4, s[sgprSizeI]            // coord0 < size0
v_cmp_lt_u32 s[56:57], v1, s[sgprSizeJ]            // coord1 < size1
s_and_b64 s[56:57], s[52:53], s[56:57]             // in0 && in1
_v_add_lshl_u32 v102, v3, v4, 0x1                  // scaleToBpe: accumulate d0 lower and *= bpe into Cin addr
v_cndmask_b32 v102, -1, v102, s[56:57]             // LDD clip if OOB. offset
/* (d1,vc1,d0,vc0)=(7,0,3,0) */
s_mov_b32 s52, 192                                 // coordOffset0 d0=3 vc0=0
_v_add_co_u32 v4, vcc, v0, s52                     // coord0.2: coord0 += d0*sg0*VW + vc0
v_cmp_lt_u32 s[52:53], v4, s[sgprSizeI]            // coord0 < size0
v_cmp_lt_u32 s[56:57], v1, s[sgprSizeJ]            // coord1 < size1
s_and_b64 s[56:57], s[52:53], s[56:57]             // in0 && in1
_v_add_lshl_u32 v105, v3, v4, 0x1                  // scaleToBpe: accumulate d0 lower and *= bpe into Cin addr
v_cndmask_b32 v105, -1, v105, s[56:57]             // LDD clip if OOB. offset
/* (d1,vc1,d0,vc0)=(7,1,0,0) */
_v_add_co_u32 v1, vcc, v1, 1                       // coord1.1: coord1Vgpr += d1*sg1*VW + vc1

/* Fix for UseInitialStridesCD, emitAddressSetupCode */
_v_add_u32 v2, v2, s[sgprStrideC1J]                // ROWINC- Move cinRowPtr to next row
_v_add_u32 v3, v3, s[sgprStrideD1J]                // Move coutRowPtr to next row
v_cmp_lt_u32 s[52:53], v0, s[sgprSizeI]            // coord0 < size0
v_cmp_lt_u32 s[56:57], v1, s[sgprSizeJ]            // coord1 < size1
s_and_b64 s[56:57], s[52:53], s[56:57]             // in0 && in1
_v_add_lshl_u32 v108, v3, v0, 0x1                  // scaleToBpe: accumulate d0 lower and *= bpe into Cin addr
v_cndmask_b32 v108, -1, v108, s[56:57]             // LDD clip if OOB. offset
/* (d1,vc1,d0,vc0)=(7,1,1,0) */
_v_add_co_u32 v4, vcc, v0, 64                      // coord0.1: coord0 += d0*sg0*VW + vc0
v_cmp_lt_u32 s[52:53], v4, s[sgprSizeI]            // coord0 < size0
v_cmp_lt_u32 s[56:57], v1, s[sgprSizeJ]            // coord1 < size1
s_and_b64 s[56:57], s[52:53], s[56:57]             // in0 && in1
_v_add_lshl_u32 v111, v3, v4, 0x1                  // scaleToBpe: accumulate d0 lower and *= bpe into Cin addr
v_cndmask_b32 v111, -1, v111, s[56:57]             // LDD clip if OOB. offset
/* (d1,vc1,d0,vc0)=(7,1,2,0) */
s_mov_b32 s52, 128                                 // coordOffset0 d0=2 vc0=0
_v_add_co_u32 v4, vcc, v0, s52                     // coord0.2: coord0 += d0*sg0*VW + vc0
v_cmp_lt_u32 s[52:53], v4, s[sgprSizeI]            // coord0 < size0
v_cmp_lt_u32 s[56:57], v1, s[sgprSizeJ]            // coord1 < size1
s_and_b64 s[56:57], s[52:53], s[56:57]             // in0 && in1
_v_add_lshl_u32 v114, v3, v4, 0x1                  // scaleToBpe: accumulate d0 lower and *= bpe into Cin addr
v_cndmask_b32 v114, -1, v114, s[56:57]             // LDD clip if OOB. offset
/* (d1,vc1,d0,vc0)=(7,1,3,0) */
s_mov_b32 s52, 192                                 // coordOffset0 d0=3 vc0=0
_v_add_co_u32 v4, vcc, v0, s52                     // coord0.2: coord0 += d0*sg0*VW + vc0
v_cmp_lt_u32 s[52:53], v4, s[sgprSizeI]            // coord0 < size0
v_cmp_lt_u32 s[56:57], v1, s[sgprSizeJ]            // coord1 < size1
s_and_b64 s[56:57], s[52:53], s[56:57]             // in0 && in1
_v_add_lshl_u32 v117, v3, v4, 0x1                  // scaleToBpe: accumulate d0 lower and *= bpe into Cin addr
v_cndmask_b32 v117, -1, v117, s[56:57]             // LDD clip if OOB. offset
/* (d1,vc1,d0,vc0)=(7,2,0,0) */
_v_add_co_u32 v1, vcc, v1, 1                       // coord1.1: coord1Vgpr += d1*sg1*VW + vc1

/* Fix for UseInitialStridesCD, emitAddressSetupCode */
_v_add_u32 v2, v2, s[sgprStrideC1J]                // ROWINC- Move cinRowPtr to next row
_v_add_u32 v3, v3, s[sgprStrideD1J]                // Move coutRowPtr to next row
v_cmp_lt_u32 s[52:53], v0, s[sgprSizeI]            // coord0 < size0
v_cmp_lt_u32 s[56:57], v1, s[sgprSizeJ]            // coord1 < size1
s_and_b64 s[56:57], s[52:53], s[56:57]             // in0 && in1
_v_add_lshl_u32 v120, v3, v0, 0x1                  // scaleToBpe: accumulate d0 lower and *= bpe into Cin addr
v_cndmask_b32 v120, -1, v120, s[56:57]             // LDD clip if OOB. offset
/* (d1,vc1,d0,vc0)=(7,2,1,0) */
_v_add_co_u32 v4, vcc, v0, 64                      // coord0.1: coord0 += d0*sg0*VW + vc0
v_cmp_lt_u32 s[52:53], v4, s[sgprSizeI]            // coord0 < size0
v_cmp_lt_u32 s[56:57], v1, s[sgprSizeJ]            // coord1 < size1
s_and_b64 s[56:57], s[52:53], s[56:57]             // in0 && in1
_v_add_lshl_u32 v123, v3, v4, 0x1                  // scaleToBpe: accumulate d0 lower and *= bpe into Cin addr
v_cndmask_b32 v123, -1, v123, s[56:57]             // LDD clip if OOB. offset
	;; [unrolled: 34-line block ×3, first 2 shown]
/* (d1,vc1,d0,vc0)=(7,3,2,0) */
s_mov_b32 s52, 128                                 // coordOffset0 d0=2 vc0=0
_v_add_co_u32 v4, vcc, v0, s52                     // coord0.2: coord0 += d0*sg0*VW + vc0
v_cmp_lt_u32 s[52:53], v4, s[sgprSizeI]            // coord0 < size0
v_cmp_lt_u32 s[56:57], v1, s[sgprSizeJ]            // coord1 < size1
s_and_b64 s[56:57], s[52:53], s[56:57]             // in0 && in1
_v_add_lshl_u32 v138, v3, v4, 0x1                  // scaleToBpe: accumulate d0 lower and *= bpe into Cin addr
v_cndmask_b32 v138, -1, v138, s[56:57]             // LDD clip if OOB. offset
/* (d1,vc1,d0,vc0)=(7,3,3,0) */
s_mov_b32 s52, 192                                 // coordOffset0 d0=3 vc0=0
_v_add_co_u32 v4, vcc, v0, s52                     // coord0.2: coord0 += d0*sg0*VW + vc0
v_cmp_lt_u32 s[52:53], v4, s[sgprSizeI]            // coord0 < size0
v_cmp_lt_u32 s[56:57], v1, s[sgprSizeJ]            // coord1 < size1
s_and_b64 s[56:57], s[52:53], s[56:57]             // in0 && in1
_v_add_lshl_u32 v141, v3, v4, 0x1                  // scaleToBpe: accumulate d0 lower and *= bpe into Cin addr
v_cndmask_b32 v141, -1, v141, s[56:57]             // LDD clip if OOB. offset
/* (d1,vc1,d0,vc0)=(8,0,0,0) */
_v_add_co_u32 v1, vcc, v1, 37                      // coord1.1: coord1Vgpr += d1*sg1*VW + vc1

/* Fix for UseInitialStridesCD, emitAddressSetupCode */
s_mul_i32 s52, s[sgprStrideC1J], 37                // scale stride
_v_add_u32 v2, v2, s52                             // ROWINC- Move cinRowPtr to next row
s_mul_i32 s52, s[sgprStrideD1J], 37                // scale stride
_v_add_u32 v3, v3, s52                             // Move coutRowPtr to next row
v_cmp_lt_u32 s[52:53], v0, s[sgprSizeI]            // coord0 < size0
v_cmp_lt_u32 s[56:57], v1, s[sgprSizeJ]            // coord1 < size1
s_and_b64 s[56:57], s[52:53], s[56:57]             // in0 && in1
_v_add_lshl_u32 v144, v3, v0, 0x1                  // scaleToBpe: accumulate d0 lower and *= bpe into Cin addr
v_cndmask_b32 v144, -1, v144, s[56:57]             // LDD clip if OOB. offset
/* (d1,vc1,d0,vc0)=(8,0,1,0) */
_v_add_co_u32 v4, vcc, v0, 64                      // coord0.1: coord0 += d0*sg0*VW + vc0
v_cmp_lt_u32 s[52:53], v4, s[sgprSizeI]            // coord0 < size0
v_cmp_lt_u32 s[56:57], v1, s[sgprSizeJ]            // coord1 < size1
s_and_b64 s[56:57], s[52:53], s[56:57]             // in0 && in1
_v_add_lshl_u32 v147, v3, v4, 0x1                  // scaleToBpe: accumulate d0 lower and *= bpe into Cin addr
v_cndmask_b32 v147, -1, v147, s[56:57]             // LDD clip if OOB. offset
/* (d1,vc1,d0,vc0)=(8,0,2,0) */
s_mov_b32 s52, 128                                 // coordOffset0 d0=2 vc0=0
_v_add_co_u32 v4, vcc, v0, s52                     // coord0.2: coord0 += d0*sg0*VW + vc0
v_cmp_lt_u32 s[52:53], v4, s[sgprSizeI]            // coord0 < size0
v_cmp_lt_u32 s[56:57], v1, s[sgprSizeJ]            // coord1 < size1
s_and_b64 s[56:57], s[52:53], s[56:57]             // in0 && in1
_v_add_lshl_u32 v150, v3, v4, 0x1                  // scaleToBpe: accumulate d0 lower and *= bpe into Cin addr
v_cndmask_b32 v150, -1, v150, s[56:57]             // LDD clip if OOB. offset
/* (d1,vc1,d0,vc0)=(8,0,3,0) */
s_mov_b32 s52, 192                                 // coordOffset0 d0=3 vc0=0
_v_add_co_u32 v4, vcc, v0, s52                     // coord0.2: coord0 += d0*sg0*VW + vc0
v_cmp_lt_u32 s[52:53], v4, s[sgprSizeI]            // coord0 < size0
v_cmp_lt_u32 s[56:57], v1, s[sgprSizeJ]            // coord1 < size1
s_and_b64 s[56:57], s[52:53], s[56:57]             // in0 && in1
_v_add_lshl_u32 v153, v3, v4, 0x1                  // scaleToBpe: accumulate d0 lower and *= bpe into Cin addr
v_cndmask_b32 v153, -1, v153, s[56:57]             // LDD clip if OOB. offset
/* (d1,vc1,d0,vc0)=(8,1,0,0) */
_v_add_co_u32 v1, vcc, v1, 1                       // coord1.1: coord1Vgpr += d1*sg1*VW + vc1

/* Fix for UseInitialStridesCD, emitAddressSetupCode */
_v_add_u32 v2, v2, s[sgprStrideC1J]                // ROWINC- Move cinRowPtr to next row
_v_add_u32 v3, v3, s[sgprStrideD1J]                // Move coutRowPtr to next row
v_cmp_lt_u32 s[52:53], v0, s[sgprSizeI]            // coord0 < size0
v_cmp_lt_u32 s[56:57], v1, s[sgprSizeJ]            // coord1 < size1
s_and_b64 s[56:57], s[52:53], s[56:57]             // in0 && in1
_v_add_lshl_u32 v156, v3, v0, 0x1                  // scaleToBpe: accumulate d0 lower and *= bpe into Cin addr
v_cndmask_b32 v156, -1, v156, s[56:57]             // LDD clip if OOB. offset
/* (d1,vc1,d0,vc0)=(8,1,1,0) */
_v_add_co_u32 v4, vcc, v0, 64                      // coord0.1: coord0 += d0*sg0*VW + vc0
v_cmp_lt_u32 s[52:53], v4, s[sgprSizeI]            // coord0 < size0
v_cmp_lt_u32 s[56:57], v1, s[sgprSizeJ]            // coord1 < size1
s_and_b64 s[56:57], s[52:53], s[56:57]             // in0 && in1
_v_add_lshl_u32 v159, v3, v4, 0x1                  // scaleToBpe: accumulate d0 lower and *= bpe into Cin addr
v_cndmask_b32 v159, -1, v159, s[56:57]             // LDD clip if OOB. offset
/* (d1,vc1,d0,vc0)=(8,1,2,0) */
s_mov_b32 s52, 128                                 // coordOffset0 d0=2 vc0=0
_v_add_co_u32 v4, vcc, v0, s52                     // coord0.2: coord0 += d0*sg0*VW + vc0
v_cmp_lt_u32 s[52:53], v4, s[sgprSizeI]            // coord0 < size0
v_cmp_lt_u32 s[56:57], v1, s[sgprSizeJ]            // coord1 < size1
s_and_b64 s[56:57], s[52:53], s[56:57]             // in0 && in1
_v_add_lshl_u32 v162, v3, v4, 0x1                  // scaleToBpe: accumulate d0 lower and *= bpe into Cin addr
v_cndmask_b32 v162, -1, v162, s[56:57]             // LDD clip if OOB. offset
/* (d1,vc1,d0,vc0)=(8,1,3,0) */
s_mov_b32 s52, 192                                 // coordOffset0 d0=3 vc0=0
_v_add_co_u32 v4, vcc, v0, s52                     // coord0.2: coord0 += d0*sg0*VW + vc0
v_cmp_lt_u32 s[52:53], v4, s[sgprSizeI]            // coord0 < size0
v_cmp_lt_u32 s[56:57], v1, s[sgprSizeJ]            // coord1 < size1
s_and_b64 s[56:57], s[52:53], s[56:57]             // in0 && in1
_v_add_lshl_u32 v165, v3, v4, 0x1                  // scaleToBpe: accumulate d0 lower and *= bpe into Cin addr
v_cndmask_b32 v165, -1, v165, s[56:57]             // LDD clip if OOB. offset
/* (d1,vc1,d0,vc0)=(8,2,0,0) */
_v_add_co_u32 v1, vcc, v1, 1                       // coord1.1: coord1Vgpr += d1*sg1*VW + vc1

/* Fix for UseInitialStridesCD, emitAddressSetupCode */
_v_add_u32 v2, v2, s[sgprStrideC1J]                // ROWINC- Move cinRowPtr to next row
_v_add_u32 v3, v3, s[sgprStrideD1J]                // Move coutRowPtr to next row
v_cmp_lt_u32 s[52:53], v0, s[sgprSizeI]            // coord0 < size0
v_cmp_lt_u32 s[56:57], v1, s[sgprSizeJ]            // coord1 < size1
s_and_b64 s[56:57], s[52:53], s[56:57]             // in0 && in1
_v_add_lshl_u32 v168, v3, v0, 0x1                  // scaleToBpe: accumulate d0 lower and *= bpe into Cin addr
v_cndmask_b32 v168, -1, v168, s[56:57]             // LDD clip if OOB. offset
/* (d1,vc1,d0,vc0)=(8,2,1,0) */
_v_add_co_u32 v4, vcc, v0, 64                      // coord0.1: coord0 += d0*sg0*VW + vc0
v_cmp_lt_u32 s[52:53], v4, s[sgprSizeI]            // coord0 < size0
v_cmp_lt_u32 s[56:57], v1, s[sgprSizeJ]            // coord1 < size1
s_and_b64 s[56:57], s[52:53], s[56:57]             // in0 && in1
_v_add_lshl_u32 v171, v3, v4, 0x1                  // scaleToBpe: accumulate d0 lower and *= bpe into Cin addr
v_cndmask_b32 v171, -1, v171, s[56:57]             // LDD clip if OOB. offset
/* (d1,vc1,d0,vc0)=(8,2,2,0) */
s_mov_b32 s52, 128                                 // coordOffset0 d0=2 vc0=0
_v_add_co_u32 v4, vcc, v0, s52                     // coord0.2: coord0 += d0*sg0*VW + vc0
v_cmp_lt_u32 s[52:53], v4, s[sgprSizeI]            // coord0 < size0
v_cmp_lt_u32 s[56:57], v1, s[sgprSizeJ]            // coord1 < size1
s_and_b64 s[56:57], s[52:53], s[56:57]             // in0 && in1
_v_add_lshl_u32 v177, v3, v4, 0x1                  // scaleToBpe: accumulate d0 lower and *= bpe into Cin addr
v_cndmask_b32 v177, -1, v177, s[56:57]             // LDD clip if OOB. offset
/* (d1,vc1,d0,vc0)=(8,2,3,0) */
s_mov_b32 s52, 192                                 // coordOffset0 d0=3 vc0=0
_v_add_co_u32 v4, vcc, v0, s52                     // coord0.2: coord0 += d0*sg0*VW + vc0
v_cmp_lt_u32 s[52:53], v4, s[sgprSizeI]            // coord0 < size0
v_cmp_lt_u32 s[56:57], v1, s[sgprSizeJ]            // coord1 < size1
s_and_b64 s[56:57], s[52:53], s[56:57]             // in0 && in1
_v_add_lshl_u32 v180, v3, v4, 0x1                  // scaleToBpe: accumulate d0 lower and *= bpe into Cin addr
v_cndmask_b32 v180, -1, v180, s[56:57]             // LDD clip if OOB. offset
/* (d1,vc1,d0,vc0)=(8,3,0,0) */
_v_add_co_u32 v1, vcc, v1, 1                       // coord1.1: coord1Vgpr += d1*sg1*VW + vc1

/* Fix for UseInitialStridesCD, emitAddressSetupCode */
_v_add_u32 v2, v2, s[sgprStrideC1J]                // ROWINC- Move cinRowPtr to next row
_v_add_u32 v3, v3, s[sgprStrideD1J]                // Move coutRowPtr to next row
v_cmp_lt_u32 s[52:53], v0, s[sgprSizeI]            // coord0 < size0
v_cmp_lt_u32 s[56:57], v1, s[sgprSizeJ]            // coord1 < size1
s_and_b64 s[56:57], s[52:53], s[56:57]             // in0 && in1
_v_add_lshl_u32 v183, v3, v0, 0x1                  // scaleToBpe: accumulate d0 lower and *= bpe into Cin addr
v_cndmask_b32 v183, -1, v183, s[56:57]             // LDD clip if OOB. offset
/* (d1,vc1,d0,vc0)=(8,3,1,0) */
_v_add_co_u32 v4, vcc, v0, 64                      // coord0.1: coord0 += d0*sg0*VW + vc0
v_cmp_lt_u32 s[52:53], v4, s[sgprSizeI]            // coord0 < size0
v_cmp_lt_u32 s[56:57], v1, s[sgprSizeJ]            // coord1 < size1
s_and_b64 s[56:57], s[52:53], s[56:57]             // in0 && in1
_v_add_lshl_u32 v186, v3, v4, 0x1                  // scaleToBpe: accumulate d0 lower and *= bpe into Cin addr
v_cndmask_b32 v186, -1, v186, s[56:57]             // LDD clip if OOB. offset
/* (d1,vc1,d0,vc0)=(8,3,2,0) */
s_mov_b32 s52, 128                                 // coordOffset0 d0=2 vc0=0
_v_add_co_u32 v4, vcc, v0, s52                     // coord0.2: coord0 += d0*sg0*VW + vc0
v_cmp_lt_u32 s[52:53], v4, s[sgprSizeI]            // coord0 < size0
v_cmp_lt_u32 s[56:57], v1, s[sgprSizeJ]            // coord1 < size1
s_and_b64 s[56:57], s[52:53], s[56:57]             // in0 && in1
_v_add_lshl_u32 v189, v3, v4, 0x1                  // scaleToBpe: accumulate d0 lower and *= bpe into Cin addr
v_cndmask_b32 v189, -1, v189, s[56:57]             // LDD clip if OOB. offset
/* (d1,vc1,d0,vc0)=(8,3,3,0) */
s_mov_b32 s52, 192                                 // coordOffset0 d0=3 vc0=0
_v_add_co_u32 v4, vcc, v0, s52                     // coord0.2: coord0 += d0*sg0*VW + vc0
v_cmp_lt_u32 s[52:53], v4, s[sgprSizeI]            // coord0 < size0
v_cmp_lt_u32 s[56:57], v1, s[sgprSizeJ]            // coord1 < size1
s_and_b64 s[56:57], s[52:53], s[56:57]             // in0 && in1
_v_add_lshl_u32 v192, v3, v4, 0x1                  // scaleToBpe: accumulate d0 lower and *= bpe into Cin addr
v_cndmask_b32 v192, -1, v192, s[56:57]             // LDD clip if OOB. offset
/* (d1,vc1,d0,vc0)=(9,0,0,0) */
_v_add_co_u32 v1, vcc, v1, 5                       // coord1.1: coord1Vgpr += d1*sg1*VW + vc1

/* Fix for UseInitialStridesCD, emitAddressSetupCode */
s_mul_i32 s52, s[sgprStrideC1J], 5                 // scale stride
_v_add_u32 v2, v2, s52                             // ROWINC- Move cinRowPtr to next row
s_mul_i32 s52, s[sgprStrideD1J], 5                 // scale stride
_v_add_u32 v3, v3, s52                             // Move coutRowPtr to next row
v_cmp_lt_u32 s[52:53], v0, s[sgprSizeI]            // coord0 < size0
v_cmp_lt_u32 s[56:57], v1, s[sgprSizeJ]            // coord1 < size1
s_and_b64 s[56:57], s[52:53], s[56:57]             // in0 && in1
_v_add_lshl_u32 v195, v3, v0, 0x1                  // scaleToBpe: accumulate d0 lower and *= bpe into Cin addr
v_cndmask_b32 v195, -1, v195, s[56:57]             // LDD clip if OOB. offset
/* (d1,vc1,d0,vc0)=(9,0,1,0) */
_v_add_co_u32 v4, vcc, v0, 64                      // coord0.1: coord0 += d0*sg0*VW + vc0
v_cmp_lt_u32 s[52:53], v4, s[sgprSizeI]            // coord0 < size0
v_cmp_lt_u32 s[56:57], v1, s[sgprSizeJ]            // coord1 < size1
s_and_b64 s[56:57], s[52:53], s[56:57]             // in0 && in1
_v_add_lshl_u32 v198, v3, v4, 0x1                  // scaleToBpe: accumulate d0 lower and *= bpe into Cin addr
v_cndmask_b32 v198, -1, v198, s[56:57]             // LDD clip if OOB. offset
/* (d1,vc1,d0,vc0)=(9,0,2,0) */
s_mov_b32 s52, 128                                 // coordOffset0 d0=2 vc0=0
_v_add_co_u32 v4, vcc, v0, s52                     // coord0.2: coord0 += d0*sg0*VW + vc0
v_cmp_lt_u32 s[52:53], v4, s[sgprSizeI]            // coord0 < size0
v_cmp_lt_u32 s[56:57], v1, s[sgprSizeJ]            // coord1 < size1
s_and_b64 s[56:57], s[52:53], s[56:57]             // in0 && in1
_v_add_lshl_u32 v201, v3, v4, 0x1                  // scaleToBpe: accumulate d0 lower and *= bpe into Cin addr
v_cndmask_b32 v201, -1, v201, s[56:57]             // LDD clip if OOB. offset
/* (d1,vc1,d0,vc0)=(9,0,3,0) */
s_mov_b32 s52, 192                                 // coordOffset0 d0=3 vc0=0
_v_add_co_u32 v4, vcc, v0, s52                     // coord0.2: coord0 += d0*sg0*VW + vc0
v_cmp_lt_u32 s[52:53], v4, s[sgprSizeI]            // coord0 < size0
v_cmp_lt_u32 s[56:57], v1, s[sgprSizeJ]            // coord1 < size1
s_and_b64 s[56:57], s[52:53], s[56:57]             // in0 && in1
_v_add_lshl_u32 v204, v3, v4, 0x1                  // scaleToBpe: accumulate d0 lower and *= bpe into Cin addr
v_cndmask_b32 v204, -1, v204, s[56:57]             // LDD clip if OOB. offset
/* (d1,vc1,d0,vc0)=(9,1,0,0) */
_v_add_co_u32 v1, vcc, v1, 1                       // coord1.1: coord1Vgpr += d1*sg1*VW + vc1

/* Fix for UseInitialStridesCD, emitAddressSetupCode */
_v_add_u32 v2, v2, s[sgprStrideC1J]                // ROWINC- Move cinRowPtr to next row
_v_add_u32 v3, v3, s[sgprStrideD1J]                // Move coutRowPtr to next row
v_cmp_lt_u32 s[52:53], v0, s[sgprSizeI]            // coord0 < size0
v_cmp_lt_u32 s[56:57], v1, s[sgprSizeJ]            // coord1 < size1
s_and_b64 s[56:57], s[52:53], s[56:57]             // in0 && in1
_v_add_lshl_u32 v207, v3, v0, 0x1                  // scaleToBpe: accumulate d0 lower and *= bpe into Cin addr
v_cndmask_b32 v207, -1, v207, s[56:57]             // LDD clip if OOB. offset
/* (d1,vc1,d0,vc0)=(9,1,1,0) */
_v_add_co_u32 v4, vcc, v0, 64                      // coord0.1: coord0 += d0*sg0*VW + vc0
v_cmp_lt_u32 s[52:53], v4, s[sgprSizeI]            // coord0 < size0
v_cmp_lt_u32 s[56:57], v1, s[sgprSizeJ]            // coord1 < size1
s_and_b64 s[56:57], s[52:53], s[56:57]             // in0 && in1
_v_add_lshl_u32 v210, v3, v4, 0x1                  // scaleToBpe: accumulate d0 lower and *= bpe into Cin addr
v_cndmask_b32 v210, -1, v210, s[56:57]             // LDD clip if OOB. offset
/* (d1,vc1,d0,vc0)=(9,1,2,0) */
s_mov_b32 s52, 128                                 // coordOffset0 d0=2 vc0=0
_v_add_co_u32 v4, vcc, v0, s52                     // coord0.2: coord0 += d0*sg0*VW + vc0
v_cmp_lt_u32 s[52:53], v4, s[sgprSizeI]            // coord0 < size0
v_cmp_lt_u32 s[56:57], v1, s[sgprSizeJ]            // coord1 < size1
s_and_b64 s[56:57], s[52:53], s[56:57]             // in0 && in1
_v_add_lshl_u32 v213, v3, v4, 0x1                  // scaleToBpe: accumulate d0 lower and *= bpe into Cin addr
v_cndmask_b32 v213, -1, v213, s[56:57]             // LDD clip if OOB. offset
/* (d1,vc1,d0,vc0)=(9,1,3,0) */
s_mov_b32 s52, 192                                 // coordOffset0 d0=3 vc0=0
_v_add_co_u32 v4, vcc, v0, s52                     // coord0.2: coord0 += d0*sg0*VW + vc0
v_cmp_lt_u32 s[52:53], v4, s[sgprSizeI]            // coord0 < size0
v_cmp_lt_u32 s[56:57], v1, s[sgprSizeJ]            // coord1 < size1
s_and_b64 s[56:57], s[52:53], s[56:57]             // in0 && in1
_v_add_lshl_u32 v216, v3, v4, 0x1                  // scaleToBpe: accumulate d0 lower and *= bpe into Cin addr
v_cndmask_b32 v216, -1, v216, s[56:57]             // LDD clip if OOB. offset
/* (d1,vc1,d0,vc0)=(9,2,0,0) */
_v_add_co_u32 v1, vcc, v1, 1                       // coord1.1: coord1Vgpr += d1*sg1*VW + vc1

/* Fix for UseInitialStridesCD, emitAddressSetupCode */
_v_add_u32 v2, v2, s[sgprStrideC1J]                // ROWINC- Move cinRowPtr to next row
_v_add_u32 v3, v3, s[sgprStrideD1J]                // Move coutRowPtr to next row
	;; [unrolled: 34-line block ×3, first 2 shown]
v_cmp_lt_u32 s[52:53], v0, s[sgprSizeI]            // coord0 < size0
v_cmp_lt_u32 s[56:57], v1, s[sgprSizeJ]            // coord1 < size1
s_and_b64 s[56:57], s[52:53], s[56:57]             // in0 && in1
_v_add_lshl_u32 v231, v3, v0, 0x1                  // scaleToBpe: accumulate d0 lower and *= bpe into Cin addr
v_cndmask_b32 v231, -1, v231, s[56:57]             // LDD clip if OOB. offset
/* (d1,vc1,d0,vc0)=(9,3,1,0) */
_v_add_co_u32 v4, vcc, v0, 64                      // coord0.1: coord0 += d0*sg0*VW + vc0
v_cmp_lt_u32 s[52:53], v4, s[sgprSizeI]            // coord0 < size0
v_cmp_lt_u32 s[56:57], v1, s[sgprSizeJ]            // coord1 < size1
s_and_b64 s[56:57], s[52:53], s[56:57]             // in0 && in1
_v_add_lshl_u32 v234, v3, v4, 0x1                  // scaleToBpe: accumulate d0 lower and *= bpe into Cin addr
v_cndmask_b32 v234, -1, v234, s[56:57]             // LDD clip if OOB. offset
/* (d1,vc1,d0,vc0)=(9,3,2,0) */
s_mov_b32 s52, 128                                 // coordOffset0 d0=2 vc0=0
_v_add_co_u32 v4, vcc, v0, s52                     // coord0.2: coord0 += d0*sg0*VW + vc0
v_cmp_lt_u32 s[52:53], v4, s[sgprSizeI]            // coord0 < size0
v_cmp_lt_u32 s[56:57], v1, s[sgprSizeJ]            // coord1 < size1
s_and_b64 s[56:57], s[52:53], s[56:57]             // in0 && in1
_v_add_lshl_u32 v237, v3, v4, 0x1                  // scaleToBpe: accumulate d0 lower and *= bpe into Cin addr
v_cndmask_b32 v237, -1, v237, s[56:57]             // LDD clip if OOB. offset
/* (d1,vc1,d0,vc0)=(9,3,3,0) */
s_mov_b32 s52, 192                                 // coordOffset0 d0=3 vc0=0
_v_add_co_u32 v4, vcc, v0, s52                     // coord0.2: coord0 += d0*sg0*VW + vc0
v_cmp_lt_u32 s[52:53], v4, s[sgprSizeI]            // coord0 < size0
v_cmp_lt_u32 s[56:57], v1, s[sgprSizeJ]            // coord1 < size1
s_and_b64 s[56:57], s[52:53], s[56:57]             // in0 && in1
_v_add_lshl_u32 v240, v3, v4, 0x1                  // scaleToBpe: accumulate d0 lower and *= bpe into Cin addr
v_cndmask_b32 v240, -1, v240, s[56:57]             // LDD clip if OOB. offset
/* (d1,vc1,d0,vc0)=(10,0,0,0) */
_v_add_co_u32 v1, vcc, v1, 5                       // coord1.1: coord1Vgpr += d1*sg1*VW + vc1

/* Fix for UseInitialStridesCD, emitAddressSetupCode */
s_mul_i32 s52, s[sgprStrideC1J], 5                 // scale stride
_v_add_u32 v2, v2, s52                             // ROWINC- Move cinRowPtr to next row
s_mul_i32 s52, s[sgprStrideD1J], 5                 // scale stride
_v_add_u32 v3, v3, s52                             // Move coutRowPtr to next row
v_cmp_lt_u32 s[52:53], v0, s[sgprSizeI]            // coord0 < size0
v_cmp_lt_u32 s[56:57], v1, s[sgprSizeJ]            // coord1 < size1
s_and_b64 s[56:57], s[52:53], s[56:57]             // in0 && in1
_v_add_lshl_u32 v243, v3, v0, 0x1                  // scaleToBpe: accumulate d0 lower and *= bpe into Cin addr
v_cndmask_b32 v243, -1, v243, s[56:57]             // LDD clip if OOB. offset
/* (d1,vc1,d0,vc0)=(10,0,1,0) */
_v_add_co_u32 v4, vcc, v0, 64                      // coord0.1: coord0 += d0*sg0*VW + vc0
v_cmp_lt_u32 s[52:53], v4, s[sgprSizeI]            // coord0 < size0
v_cmp_lt_u32 s[56:57], v1, s[sgprSizeJ]            // coord1 < size1
s_and_b64 s[56:57], s[52:53], s[56:57]             // in0 && in1
_v_add_lshl_u32 v246, v3, v4, 0x1                  // scaleToBpe: accumulate d0 lower and *= bpe into Cin addr
v_cndmask_b32 v246, -1, v246, s[56:57]             // LDD clip if OOB. offset
/* (d1,vc1,d0,vc0)=(10,0,2,0) */
s_mov_b32 s52, 128                                 // coordOffset0 d0=2 vc0=0
_v_add_co_u32 v4, vcc, v0, s52                     // coord0.2: coord0 += d0*sg0*VW + vc0
v_cmp_lt_u32 s[52:53], v4, s[sgprSizeI]            // coord0 < size0
v_cmp_lt_u32 s[56:57], v1, s[sgprSizeJ]            // coord1 < size1
s_and_b64 s[56:57], s[52:53], s[56:57]             // in0 && in1
_v_add_lshl_u32 v249, v3, v4, 0x1                  // scaleToBpe: accumulate d0 lower and *= bpe into Cin addr
v_cndmask_b32 v249, -1, v249, s[56:57]             // LDD clip if OOB. offset
/* (d1,vc1,d0,vc0)=(10,0,3,0) */
s_mov_b32 s52, 192                                 // coordOffset0 d0=3 vc0=0
_v_add_co_u32 v4, vcc, v0, s52                     // coord0.2: coord0 += d0*sg0*VW + vc0
v_cmp_lt_u32 s[52:53], v4, s[sgprSizeI]            // coord0 < size0
v_cmp_lt_u32 s[56:57], v1, s[sgprSizeJ]            // coord1 < size1
s_and_b64 s[56:57], s[52:53], s[56:57]             // in0 && in1
_v_add_lshl_u32 v252, v3, v4, 0x1                  // scaleToBpe: accumulate d0 lower and *= bpe into Cin addr
v_cndmask_b32 v252, -1, v252, s[56:57]             // LDD clip if OOB. offset
v_accvgpr_read_b32 v[vgprValuC+8], acc100 // copy acc to vreg[82]
v_accvgpr_read_b32 v[vgprValuC+11], acc116 // copy acc to vreg[83]
v_accvgpr_read_b32 v[vgprValuC+14], acc69 // copy acc to vreg[84]
v_accvgpr_read_b32 v[vgprValuC+17], acc85 // copy acc to vreg[85]
v_accvgpr_read_b32 v[vgprValuC+20], acc101 // copy acc to vreg[86]
v_accvgpr_read_b32 v[vgprValuC+23], acc117 // copy acc to vreg[87]
v_accvgpr_read_b32 v[vgprValuC+26], acc70 // copy acc to vreg[88]
v_accvgpr_read_b32 v[vgprValuC+29], acc86 // copy acc to vreg[89]
v_accvgpr_read_b32 v[vgprValuC+32], acc102 // copy acc to vreg[90]
v_accvgpr_read_b32 v[vgprValuC+35], acc118 // copy acc to vreg[91]
v_accvgpr_read_b32 v[vgprValuC+38], acc71 // copy acc to vreg[92]
v_accvgpr_read_b32 v[vgprValuC+41], acc87 // copy acc to vreg[93]
v_accvgpr_read_b32 v[vgprValuC+44], acc103 // copy acc to vreg[94]
v_accvgpr_read_b32 v[vgprValuC+47], acc119 // copy acc to vreg[95]
v_accvgpr_read_b32 v[vgprValuC+50], acc72 // copy acc to vreg[96]
v_accvgpr_read_b32 v[vgprValuC+53], acc88 // copy acc to vreg[97]
v_accvgpr_read_b32 v[vgprValuC+56], acc104 // copy acc to vreg[98]
v_accvgpr_read_b32 v[vgprValuC+59], acc120 // copy acc to vreg[99]
v_accvgpr_read_b32 v[vgprValuC+62], acc73 // copy acc to vreg[100]
v_accvgpr_read_b32 v[vgprValuC+65], acc89 // copy acc to vreg[101]
v_accvgpr_read_b32 v[vgprValuC+68], acc105 // copy acc to vreg[102]
v_accvgpr_read_b32 v[vgprValuC+71], acc121 // copy acc to vreg[103]
v_accvgpr_read_b32 v[vgprValuC+74], acc74 // copy acc to vreg[104]
v_accvgpr_read_b32 v[vgprValuC+77], acc90 // copy acc to vreg[105]
v_accvgpr_read_b32 v[vgprValuC+80], acc106 // copy acc to vreg[106]
v_accvgpr_read_b32 v[vgprValuC+83], acc122 // copy acc to vreg[107]
v_accvgpr_read_b32 v[vgprValuC+86], acc75 // copy acc to vreg[108]
v_accvgpr_read_b32 v[vgprValuC+89], acc91 // copy acc to vreg[109]
v_accvgpr_read_b32 v[vgprValuC+92], acc107 // copy acc to vreg[110]
v_accvgpr_read_b32 v[vgprValuC+95], acc123 // copy acc to vreg[111]
v_accvgpr_read_b32 v[vgprValuC+98], acc76 // copy acc to vreg[112]
v_accvgpr_read_b32 v[vgprValuC+101], acc92 // copy acc to vreg[113]
v_accvgpr_read_b32 v[vgprValuC+104], acc108 // copy acc to vreg[114]
v_accvgpr_read_b32 v[vgprValuC+107], acc124 // copy acc to vreg[115]
v_accvgpr_read_b32 v[vgprValuC+110], acc77 // copy acc to vreg[116]
v_accvgpr_read_b32 v[vgprValuC+113], acc93 // copy acc to vreg[117]
v_accvgpr_read_b32 v[vgprValuC+116], acc109 // copy acc to vreg[118]
v_accvgpr_read_b32 v[vgprValuC+119], acc125 // copy acc to vreg[119]
v_accvgpr_read_b32 v[vgprValuC+122], acc78 // copy acc to vreg[120]
v_accvgpr_read_b32 v[vgprValuC+125], acc94 // copy acc to vreg[121]
v_accvgpr_read_b32 v[vgprValuC+128], acc110 // copy acc to vreg[122]
v_accvgpr_read_b32 v[vgprValuC+131], acc126 // copy acc to vreg[123]
v_accvgpr_read_b32 v[vgprValuC+134], acc79 // copy acc to vreg[124]
v_accvgpr_read_b32 v[vgprValuC+137], acc95 // copy acc to vreg[125]
v_accvgpr_read_b32 v[vgprValuC+140], acc111 // copy acc to vreg[126]
v_accvgpr_read_b32 v[vgprValuC+143], acc127 // copy acc to vreg[127]
v_accvgpr_read_b32 v[vgprValuC+146], acc128 // copy acc to vreg[128]
v_accvgpr_read_b32 v[vgprValuC+149], acc144 // copy acc to vreg[129]
v_accvgpr_read_b32 v[vgprValuC+152], acc160 // copy acc to vreg[130]
v_accvgpr_read_b32 v[vgprValuC+155], acc176 // copy acc to vreg[131]
v_accvgpr_read_b32 v[vgprValuC+158], acc129 // copy acc to vreg[132]
v_accvgpr_read_b32 v[vgprValuC+161], acc145 // copy acc to vreg[133]
v_accvgpr_read_b32 v[vgprValuC+164], acc161 // copy acc to vreg[134]
v_accvgpr_read_b32 v[vgprValuC+167], acc177 // copy acc to vreg[135]
v_accvgpr_read_b32 v[vgprValuC+170], acc130 // copy acc to vreg[136]
v_accvgpr_read_b32 v[vgprValuC+176], acc146 // copy acc to vreg[137]
v_accvgpr_read_b32 v[vgprValuC+179], acc162 // copy acc to vreg[138]
v_accvgpr_read_b32 v[vgprValuC+182], acc178 // copy acc to vreg[139]
v_accvgpr_read_b32 v[vgprValuC+185], acc131 // copy acc to vreg[140]
v_accvgpr_read_b32 v[vgprValuC+188], acc147 // copy acc to vreg[141]
v_accvgpr_read_b32 v[vgprValuC+191], acc163 // copy acc to vreg[142]
v_accvgpr_read_b32 v[vgprValuC+194], acc179 // copy acc to vreg[143]
v_accvgpr_read_b32 v[vgprValuC+197], acc132 // copy acc to vreg[144]
v_accvgpr_read_b32 v[vgprValuC+200], acc148 // copy acc to vreg[145]
v_accvgpr_read_b32 v[vgprValuC+203], acc164 // copy acc to vreg[146]
v_accvgpr_read_b32 v[vgprValuC+206], acc180 // copy acc to vreg[147]
v_accvgpr_read_b32 v[vgprValuC+209], acc133 // copy acc to vreg[148]
v_accvgpr_read_b32 v[vgprValuC+212], acc149 // copy acc to vreg[149]
v_accvgpr_read_b32 v[vgprValuC+215], acc165 // copy acc to vreg[150]
v_accvgpr_read_b32 v[vgprValuC+218], acc181 // copy acc to vreg[151]
v_accvgpr_read_b32 v[vgprValuC+221], acc134 // copy acc to vreg[152]
v_accvgpr_read_b32 v[vgprValuC+224], acc150 // copy acc to vreg[153]
v_accvgpr_read_b32 v[vgprValuC+227], acc166 // copy acc to vreg[154]
v_accvgpr_read_b32 v[vgprValuC+230], acc182 // copy acc to vreg[155]
v_accvgpr_read_b32 v[vgprValuC+233], acc135 // copy acc to vreg[156]
v_accvgpr_read_b32 v[vgprValuC+236], acc151 // copy acc to vreg[157]
v_accvgpr_read_b32 v[vgprValuC+239], acc167 // copy acc to vreg[158]
v_accvgpr_read_b32 v[vgprValuC+242], acc183 // copy acc to vreg[159]
v_accvgpr_read_b32 v[vgprValuC+245], acc136 // copy acc to vreg[160]
v_accvgpr_read_b32 v[vgprValuC+248], acc152 // copy acc to vreg[161]
v_accvgpr_read_b32 v[vgprValuC+251], acc168 // copy acc to vreg[162]
v_accvgpr_read_b32 v[vgprValuC+254], acc184 // copy acc to vreg[163]
s_nop 1                                            // 2 wait states required before reading vgpr

/* rC *= alpha batchElements=[(5, 2, 0, 0), (5, 3, 0, 0), (5, 0, 1, 0), (5, 1, 1, 0), (5, 2, 1, 0), (5, 3, 1, 0), (5, 0, 2, 0), (5, 1, 2, 0), (5, 2, 2, 0), (5, 3, 2, 0), (5, 0, 3, 0), (5, 1, 3, 0), (5, 2, 3, 0), (5, 3, 3, 0), (6, 0, 0, 0), (6, 1, 0, 0), (6, 2, 0, 0), (6, 3, 0, 0), (6, 0, 1, 0), (6, 1, 1, 0), (6, 2, 1, 0), (6, 3, 1, 0), (6, 0, 2, 0), (6, 1, 2, 0), (6, 2, 2, 0), (6, 3, 2, 0), (6, 0, 3, 0), (6, 1, 3, 0), (6, 2, 3, 0), (6, 3, 3, 0), (7, 0, 0, 0), (7, 1, 0, 0), (7, 2, 0, 0), (7, 3, 0, 0), (7, 0, 1, 0), (7, 1, 1, 0), (7, 2, 1, 0), (7, 3, 1, 0), (7, 0, 2, 0), (7, 1, 2, 0), (7, 2, 2, 0), (7, 3, 2, 0), (7, 0, 3, 0), (7, 1, 3, 0), (7, 2, 3, 0), (7, 3, 3, 0), (8, 0, 0, 0), (8, 1, 0, 0), (8, 2, 0, 0), (8, 3, 0, 0), (8, 0, 1, 0), (8, 1, 1, 0), (8, 2, 1, 0), (8, 3, 1, 0), (8, 0, 2, 0), (8, 1, 2, 0), (8, 2, 2, 0), (8, 3, 2, 0), (8, 0, 3, 0), (8, 1, 3, 0), (8, 2, 3, 0), (8, 3, 3, 0), (9, 0, 0, 0), (9, 1, 0, 0), (9, 2, 0, 0), (9, 3, 0, 0), (9, 0, 1, 0), (9, 1, 1, 0), (9, 2, 1, 0), (9, 3, 1, 0), (9, 0, 2, 0), (9, 1, 2, 0), (9, 2, 2, 0), (9, 3, 2, 0), (9, 0, 3, 0), (9, 1, 3, 0), (9, 2, 3, 0), (9, 3, 3, 0), (10, 0, 0, 0), (10, 1, 0, 0), (10, 2, 0, 0), (10, 3, 0, 0)] */
v_mul_f32 v[vgprValuC+8], s[sgprAlpha], v[vgprValuC+8] // *= alpha
v_mul_f32 v[vgprValuC+11], s[sgprAlpha], v[vgprValuC+11] // *= alpha
	;; [unrolled: 1-line block ×82, first 2 shown]

/* apply mask, calc new C and issue writes */
v_cvt_f16_f32 v[vgprValuC+8], v[vgprValuC+8]       // convert C to fp16
v_cvt_f16_f32 v[vgprValuC+11], v[vgprValuC+11]     // convert C to fp16
v_cvt_f16_f32 v[vgprValuC+14], v[vgprValuC+14]     // convert C to fp16
	;; [unrolled: 1-line block ×30, first 2 shown]
v_cvt_f16_f32 v[vgprValuC+101], v[vgprValuC+101]   // convert C to fp16
v_cvt_f16_f32 v[vgprValuC+104], v[vgprValuC+104]   // convert C to fp16
	;; [unrolled: 1-line block ×51, first 2 shown]
_buffer_store_b16 v8, v6, s[sgprSrdD:sgprSrdD+3], 0, offen, offset:0,  sc0 sc1 // store D
_buffer_store_b16 v11, v9, s[sgprSrdD:sgprSrdD+3], 0, offen, offset:0,  sc0 sc1 // store D
	;; [unrolled: 1-line block ×82, first 2 shown]
s_nop 0                                            // 1 wait state required when next inst writes vgprs held by previous dwordx4 store inst
/* optSingleColVgpr=0 optSharedColVgpr=0 optSGPRUsage=BufferLoad_Edge_Mask optSrdIncForRow=0 */
s_sleep 3 // optimization: sync and wait
s_barrier

/******************************************/
/* Global Write Alpha Edge Batch #2 (d1,d0,vc1,vc0) = */
/*    (10,0,1,0:vw1); (10,1,1,0:vw1); (10,2,1,0:vw1); (10,3,1,0:vw1); (10,0,2,0:vw1); (10,1,2,0:vw1); (10,2,2,0:vw1); (10,3,2,0:vw1); (10,0,3,0:vw1); (10,1,3,0:vw1); (10,2,3,0:vw1); (10,3,3,0:vw1); (11,0,0,0:vw1); (11,1,0,0:vw1); (11,2,0,0:vw1); (11,3,0,0:vw1); (11,0,1,0:vw1); (11,1,1,0:vw1); (11,2,1,0:vw1); (11,3,1,0:vw1); (11,0,2,0:vw1); (11,1,2,0:vw1); (11,2,2,0:vw1); (11,3,2,0:vw1); (11,0,3,0:vw1); (11,1,3,0:vw1); (11,2,3,0:vw1); (11,3,3,0:vw1) */
/******************************************/

/* calc coords, apply mask, and issue loads (if necessary) */
/* (d1,vc1,d0,vc0)=(10,1,0,0) */
_v_add_co_u32 v1, vcc, v1, 1                       // coord1.1: coord1Vgpr += d1*sg1*VW + vc1

/* Fix for UseInitialStridesCD, emitAddressSetupCode */
_v_add_u32 v2, v2, s[sgprStrideC1J]                // ROWINC- Move cinRowPtr to next row
_v_add_u32 v3, v3, s[sgprStrideD1J]                // Move coutRowPtr to next row
v_cmp_lt_u32 s[52:53], v0, s[sgprSizeI]            // coord0 < size0
v_cmp_lt_u32 s[56:57], v1, s[sgprSizeJ]            // coord1 < size1
s_and_b64 s[56:57], s[52:53], s[56:57]             // in0 && in1
_v_add_lshl_u32 v6, v3, v0, 0x1                    // scaleToBpe: accumulate d0 lower and *= bpe into Cin addr
v_cndmask_b32 v6, -1, v6, s[56:57]                 // LDD clip if OOB. offset
/* (d1,vc1,d0,vc0)=(10,1,1,0) */
_v_add_co_u32 v4, vcc, v0, 64                      // coord0.1: coord0 += d0*sg0*VW + vc0
v_cmp_lt_u32 s[52:53], v4, s[sgprSizeI]            // coord0 < size0
v_cmp_lt_u32 s[56:57], v1, s[sgprSizeJ]            // coord1 < size1
s_and_b64 s[56:57], s[52:53], s[56:57]             // in0 && in1
_v_add_lshl_u32 v9, v3, v4, 0x1                    // scaleToBpe: accumulate d0 lower and *= bpe into Cin addr
v_cndmask_b32 v9, -1, v9, s[56:57]                 // LDD clip if OOB. offset
/* (d1,vc1,d0,vc0)=(10,1,2,0) */
s_mov_b32 s52, 128                                 // coordOffset0 d0=2 vc0=0
_v_add_co_u32 v4, vcc, v0, s52                     // coord0.2: coord0 += d0*sg0*VW + vc0
v_cmp_lt_u32 s[52:53], v4, s[sgprSizeI]            // coord0 < size0
v_cmp_lt_u32 s[56:57], v1, s[sgprSizeJ]            // coord1 < size1
s_and_b64 s[56:57], s[52:53], s[56:57]             // in0 && in1
_v_add_lshl_u32 v12, v3, v4, 0x1                   // scaleToBpe: accumulate d0 lower and *= bpe into Cin addr
v_cndmask_b32 v12, -1, v12, s[56:57]               // LDD clip if OOB. offset
/* (d1,vc1,d0,vc0)=(10,1,3,0) */
s_mov_b32 s52, 192                                 // coordOffset0 d0=3 vc0=0
_v_add_co_u32 v4, vcc, v0, s52                     // coord0.2: coord0 += d0*sg0*VW + vc0
v_cmp_lt_u32 s[52:53], v4, s[sgprSizeI]            // coord0 < size0
v_cmp_lt_u32 s[56:57], v1, s[sgprSizeJ]            // coord1 < size1
s_and_b64 s[56:57], s[52:53], s[56:57]             // in0 && in1
_v_add_lshl_u32 v15, v3, v4, 0x1                   // scaleToBpe: accumulate d0 lower and *= bpe into Cin addr
v_cndmask_b32 v15, -1, v15, s[56:57]               // LDD clip if OOB. offset
/* (d1,vc1,d0,vc0)=(10,2,0,0) */
_v_add_co_u32 v1, vcc, v1, 1                       // coord1.1: coord1Vgpr += d1*sg1*VW + vc1

/* Fix for UseInitialStridesCD, emitAddressSetupCode */
_v_add_u32 v2, v2, s[sgprStrideC1J]                // ROWINC- Move cinRowPtr to next row
_v_add_u32 v3, v3, s[sgprStrideD1J]                // Move coutRowPtr to next row
v_cmp_lt_u32 s[52:53], v0, s[sgprSizeI]            // coord0 < size0
v_cmp_lt_u32 s[56:57], v1, s[sgprSizeJ]            // coord1 < size1
s_and_b64 s[56:57], s[52:53], s[56:57]             // in0 && in1
_v_add_lshl_u32 v18, v3, v0, 0x1                   // scaleToBpe: accumulate d0 lower and *= bpe into Cin addr
v_cndmask_b32 v18, -1, v18, s[56:57]               // LDD clip if OOB. offset
/* (d1,vc1,d0,vc0)=(10,2,1,0) */
_v_add_co_u32 v4, vcc, v0, 64                      // coord0.1: coord0 += d0*sg0*VW + vc0
v_cmp_lt_u32 s[52:53], v4, s[sgprSizeI]            // coord0 < size0
v_cmp_lt_u32 s[56:57], v1, s[sgprSizeJ]            // coord1 < size1
s_and_b64 s[56:57], s[52:53], s[56:57]             // in0 && in1
_v_add_lshl_u32 v21, v3, v4, 0x1                   // scaleToBpe: accumulate d0 lower and *= bpe into Cin addr
v_cndmask_b32 v21, -1, v21, s[56:57]               // LDD clip if OOB. offset
/* (d1,vc1,d0,vc0)=(10,2,2,0) */
s_mov_b32 s52, 128                                 // coordOffset0 d0=2 vc0=0
_v_add_co_u32 v4, vcc, v0, s52                     // coord0.2: coord0 += d0*sg0*VW + vc0
v_cmp_lt_u32 s[52:53], v4, s[sgprSizeI]            // coord0 < size0
v_cmp_lt_u32 s[56:57], v1, s[sgprSizeJ]            // coord1 < size1
s_and_b64 s[56:57], s[52:53], s[56:57]             // in0 && in1
_v_add_lshl_u32 v24, v3, v4, 0x1                   // scaleToBpe: accumulate d0 lower and *= bpe into Cin addr
v_cndmask_b32 v24, -1, v24, s[56:57]               // LDD clip if OOB. offset
/* (d1,vc1,d0,vc0)=(10,2,3,0) */
s_mov_b32 s52, 192                                 // coordOffset0 d0=3 vc0=0
_v_add_co_u32 v4, vcc, v0, s52                     // coord0.2: coord0 += d0*sg0*VW + vc0
v_cmp_lt_u32 s[52:53], v4, s[sgprSizeI]            // coord0 < size0
v_cmp_lt_u32 s[56:57], v1, s[sgprSizeJ]            // coord1 < size1
s_and_b64 s[56:57], s[52:53], s[56:57]             // in0 && in1
_v_add_lshl_u32 v27, v3, v4, 0x1                   // scaleToBpe: accumulate d0 lower and *= bpe into Cin addr
v_cndmask_b32 v27, -1, v27, s[56:57]               // LDD clip if OOB. offset
/* (d1,vc1,d0,vc0)=(10,3,0,0) */
_v_add_co_u32 v1, vcc, v1, 1                       // coord1.1: coord1Vgpr += d1*sg1*VW + vc1

/* Fix for UseInitialStridesCD, emitAddressSetupCode */
_v_add_u32 v2, v2, s[sgprStrideC1J]                // ROWINC- Move cinRowPtr to next row
_v_add_u32 v3, v3, s[sgprStrideD1J]                // Move coutRowPtr to next row
v_cmp_lt_u32 s[52:53], v0, s[sgprSizeI]            // coord0 < size0
v_cmp_lt_u32 s[56:57], v1, s[sgprSizeJ]            // coord1 < size1
s_and_b64 s[56:57], s[52:53], s[56:57]             // in0 && in1
_v_add_lshl_u32 v30, v3, v0, 0x1                   // scaleToBpe: accumulate d0 lower and *= bpe into Cin addr
v_cndmask_b32 v30, -1, v30, s[56:57]               // LDD clip if OOB. offset
/* (d1,vc1,d0,vc0)=(10,3,1,0) */
_v_add_co_u32 v4, vcc, v0, 64                      // coord0.1: coord0 += d0*sg0*VW + vc0
v_cmp_lt_u32 s[52:53], v4, s[sgprSizeI]            // coord0 < size0
v_cmp_lt_u32 s[56:57], v1, s[sgprSizeJ]            // coord1 < size1
s_and_b64 s[56:57], s[52:53], s[56:57]             // in0 && in1
_v_add_lshl_u32 v33, v3, v4, 0x1                   // scaleToBpe: accumulate d0 lower and *= bpe into Cin addr
v_cndmask_b32 v33, -1, v33, s[56:57]               // LDD clip if OOB. offset
/* (d1,vc1,d0,vc0)=(10,3,2,0) */
s_mov_b32 s52, 128                                 // coordOffset0 d0=2 vc0=0
_v_add_co_u32 v4, vcc, v0, s52                     // coord0.2: coord0 += d0*sg0*VW + vc0
v_cmp_lt_u32 s[52:53], v4, s[sgprSizeI]            // coord0 < size0
v_cmp_lt_u32 s[56:57], v1, s[sgprSizeJ]            // coord1 < size1
s_and_b64 s[56:57], s[52:53], s[56:57]             // in0 && in1
_v_add_lshl_u32 v36, v3, v4, 0x1                   // scaleToBpe: accumulate d0 lower and *= bpe into Cin addr
v_cndmask_b32 v36, -1, v36, s[56:57]               // LDD clip if OOB. offset
/* (d1,vc1,d0,vc0)=(10,3,3,0) */
s_mov_b32 s52, 192                                 // coordOffset0 d0=3 vc0=0
_v_add_co_u32 v4, vcc, v0, s52                     // coord0.2: coord0 += d0*sg0*VW + vc0
v_cmp_lt_u32 s[52:53], v4, s[sgprSizeI]            // coord0 < size0
v_cmp_lt_u32 s[56:57], v1, s[sgprSizeJ]            // coord1 < size1
s_and_b64 s[56:57], s[52:53], s[56:57]             // in0 && in1
_v_add_lshl_u32 v39, v3, v4, 0x1                   // scaleToBpe: accumulate d0 lower and *= bpe into Cin addr
v_cndmask_b32 v39, -1, v39, s[56:57]               // LDD clip if OOB. offset
/* (d1,vc1,d0,vc0)=(11,0,0,0) */
_v_add_co_u32 v1, vcc, v1, 5                       // coord1.1: coord1Vgpr += d1*sg1*VW + vc1

/* Fix for UseInitialStridesCD, emitAddressSetupCode */
s_mul_i32 s52, s[sgprStrideC1J], 5                 // scale stride
_v_add_u32 v2, v2, s52                             // ROWINC- Move cinRowPtr to next row
s_mul_i32 s52, s[sgprStrideD1J], 5                 // scale stride
_v_add_u32 v3, v3, s52                             // Move coutRowPtr to next row
v_cmp_lt_u32 s[52:53], v0, s[sgprSizeI]            // coord0 < size0
v_cmp_lt_u32 s[56:57], v1, s[sgprSizeJ]            // coord1 < size1
s_and_b64 s[56:57], s[52:53], s[56:57]             // in0 && in1
_v_add_lshl_u32 v42, v3, v0, 0x1                   // scaleToBpe: accumulate d0 lower and *= bpe into Cin addr
v_cndmask_b32 v42, -1, v42, s[56:57]               // LDD clip if OOB. offset
/* (d1,vc1,d0,vc0)=(11,0,1,0) */
_v_add_co_u32 v4, vcc, v0, 64                      // coord0.1: coord0 += d0*sg0*VW + vc0
v_cmp_lt_u32 s[52:53], v4, s[sgprSizeI]            // coord0 < size0
v_cmp_lt_u32 s[56:57], v1, s[sgprSizeJ]            // coord1 < size1
s_and_b64 s[56:57], s[52:53], s[56:57]             // in0 && in1
_v_add_lshl_u32 v45, v3, v4, 0x1                   // scaleToBpe: accumulate d0 lower and *= bpe into Cin addr
v_cndmask_b32 v45, -1, v45, s[56:57]               // LDD clip if OOB. offset
/* (d1,vc1,d0,vc0)=(11,0,2,0) */
s_mov_b32 s52, 128                                 // coordOffset0 d0=2 vc0=0
_v_add_co_u32 v4, vcc, v0, s52                     // coord0.2: coord0 += d0*sg0*VW + vc0
v_cmp_lt_u32 s[52:53], v4, s[sgprSizeI]            // coord0 < size0
v_cmp_lt_u32 s[56:57], v1, s[sgprSizeJ]            // coord1 < size1
s_and_b64 s[56:57], s[52:53], s[56:57]             // in0 && in1
_v_add_lshl_u32 v48, v3, v4, 0x1                   // scaleToBpe: accumulate d0 lower and *= bpe into Cin addr
v_cndmask_b32 v48, -1, v48, s[56:57]               // LDD clip if OOB. offset
/* (d1,vc1,d0,vc0)=(11,0,3,0) */
s_mov_b32 s52, 192                                 // coordOffset0 d0=3 vc0=0
_v_add_co_u32 v4, vcc, v0, s52                     // coord0.2: coord0 += d0*sg0*VW + vc0
v_cmp_lt_u32 s[52:53], v4, s[sgprSizeI]            // coord0 < size0
v_cmp_lt_u32 s[56:57], v1, s[sgprSizeJ]            // coord1 < size1
s_and_b64 s[56:57], s[52:53], s[56:57]             // in0 && in1
_v_add_lshl_u32 v51, v3, v4, 0x1                   // scaleToBpe: accumulate d0 lower and *= bpe into Cin addr
v_cndmask_b32 v51, -1, v51, s[56:57]               // LDD clip if OOB. offset
/* (d1,vc1,d0,vc0)=(11,1,0,0) */
_v_add_co_u32 v1, vcc, v1, 1                       // coord1.1: coord1Vgpr += d1*sg1*VW + vc1

/* Fix for UseInitialStridesCD, emitAddressSetupCode */
_v_add_u32 v2, v2, s[sgprStrideC1J]                // ROWINC- Move cinRowPtr to next row
_v_add_u32 v3, v3, s[sgprStrideD1J]                // Move coutRowPtr to next row
v_cmp_lt_u32 s[52:53], v0, s[sgprSizeI]            // coord0 < size0
v_cmp_lt_u32 s[56:57], v1, s[sgprSizeJ]            // coord1 < size1
s_and_b64 s[56:57], s[52:53], s[56:57]             // in0 && in1
_v_add_lshl_u32 v54, v3, v0, 0x1                   // scaleToBpe: accumulate d0 lower and *= bpe into Cin addr
v_cndmask_b32 v54, -1, v54, s[56:57]               // LDD clip if OOB. offset
/* (d1,vc1,d0,vc0)=(11,1,1,0) */
_v_add_co_u32 v4, vcc, v0, 64                      // coord0.1: coord0 += d0*sg0*VW + vc0
v_cmp_lt_u32 s[52:53], v4, s[sgprSizeI]            // coord0 < size0
v_cmp_lt_u32 s[56:57], v1, s[sgprSizeJ]            // coord1 < size1
s_and_b64 s[56:57], s[52:53], s[56:57]             // in0 && in1
_v_add_lshl_u32 v57, v3, v4, 0x1                   // scaleToBpe: accumulate d0 lower and *= bpe into Cin addr
v_cndmask_b32 v57, -1, v57, s[56:57]               // LDD clip if OOB. offset
/* (d1,vc1,d0,vc0)=(11,1,2,0) */
s_mov_b32 s52, 128                                 // coordOffset0 d0=2 vc0=0
_v_add_co_u32 v4, vcc, v0, s52                     // coord0.2: coord0 += d0*sg0*VW + vc0
v_cmp_lt_u32 s[52:53], v4, s[sgprSizeI]            // coord0 < size0
v_cmp_lt_u32 s[56:57], v1, s[sgprSizeJ]            // coord1 < size1
s_and_b64 s[56:57], s[52:53], s[56:57]             // in0 && in1
_v_add_lshl_u32 v60, v3, v4, 0x1                   // scaleToBpe: accumulate d0 lower and *= bpe into Cin addr
v_cndmask_b32 v60, -1, v60, s[56:57]               // LDD clip if OOB. offset
/* (d1,vc1,d0,vc0)=(11,1,3,0) */
s_mov_b32 s52, 192                                 // coordOffset0 d0=3 vc0=0
_v_add_co_u32 v4, vcc, v0, s52                     // coord0.2: coord0 += d0*sg0*VW + vc0
v_cmp_lt_u32 s[52:53], v4, s[sgprSizeI]            // coord0 < size0
v_cmp_lt_u32 s[56:57], v1, s[sgprSizeJ]            // coord1 < size1
s_and_b64 s[56:57], s[52:53], s[56:57]             // in0 && in1
_v_add_lshl_u32 v63, v3, v4, 0x1                   // scaleToBpe: accumulate d0 lower and *= bpe into Cin addr
v_cndmask_b32 v63, -1, v63, s[56:57]               // LDD clip if OOB. offset
/* (d1,vc1,d0,vc0)=(11,2,0,0) */
_v_add_co_u32 v1, vcc, v1, 1                       // coord1.1: coord1Vgpr += d1*sg1*VW + vc1

/* Fix for UseInitialStridesCD, emitAddressSetupCode */
_v_add_u32 v2, v2, s[sgprStrideC1J]                // ROWINC- Move cinRowPtr to next row
_v_add_u32 v3, v3, s[sgprStrideD1J]                // Move coutRowPtr to next row
	;; [unrolled: 34-line block ×3, first 2 shown]
v_cmp_lt_u32 s[52:53], v0, s[sgprSizeI]            // coord0 < size0
v_cmp_lt_u32 s[56:57], v1, s[sgprSizeJ]            // coord1 < size1
s_and_b64 s[56:57], s[52:53], s[56:57]             // in0 && in1
_v_add_lshl_u32 v78, v3, v0, 0x1                   // scaleToBpe: accumulate d0 lower and *= bpe into Cin addr
v_cndmask_b32 v78, -1, v78, s[56:57]               // LDD clip if OOB. offset
/* (d1,vc1,d0,vc0)=(11,3,1,0) */
_v_add_co_u32 v4, vcc, v0, 64                      // coord0.1: coord0 += d0*sg0*VW + vc0
v_cmp_lt_u32 s[52:53], v4, s[sgprSizeI]            // coord0 < size0
v_cmp_lt_u32 s[56:57], v1, s[sgprSizeJ]            // coord1 < size1
s_and_b64 s[56:57], s[52:53], s[56:57]             // in0 && in1
_v_add_lshl_u32 v81, v3, v4, 0x1                   // scaleToBpe: accumulate d0 lower and *= bpe into Cin addr
v_cndmask_b32 v81, -1, v81, s[56:57]               // LDD clip if OOB. offset
/* (d1,vc1,d0,vc0)=(11,3,2,0) */
s_mov_b32 s52, 128                                 // coordOffset0 d0=2 vc0=0
_v_add_co_u32 v4, vcc, v0, s52                     // coord0.2: coord0 += d0*sg0*VW + vc0
v_cmp_lt_u32 s[52:53], v4, s[sgprSizeI]            // coord0 < size0
v_cmp_lt_u32 s[56:57], v1, s[sgprSizeJ]            // coord1 < size1
s_and_b64 s[56:57], s[52:53], s[56:57]             // in0 && in1
_v_add_lshl_u32 v84, v3, v4, 0x1                   // scaleToBpe: accumulate d0 lower and *= bpe into Cin addr
v_cndmask_b32 v84, -1, v84, s[56:57]               // LDD clip if OOB. offset
/* (d1,vc1,d0,vc0)=(11,3,3,0) */
s_mov_b32 s52, 192                                 // coordOffset0 d0=3 vc0=0
_v_add_co_u32 v4, vcc, v0, s52                     // coord0.2: coord0 += d0*sg0*VW + vc0
v_cmp_lt_u32 s[52:53], v4, s[sgprSizeI]            // coord0 < size0
v_cmp_lt_u32 s[56:57], v1, s[sgprSizeJ]            // coord1 < size1
s_and_b64 s[56:57], s[52:53], s[56:57]             // in0 && in1
_v_add_lshl_u32 v87, v3, v4, 0x1                   // scaleToBpe: accumulate d0 lower and *= bpe into Cin addr
v_cndmask_b32 v87, -1, v87, s[56:57]               // LDD clip if OOB. offset
v_accvgpr_read_b32 v[vgprValuC+8], acc137 // copy acc to vreg[164]
v_accvgpr_read_b32 v[vgprValuC+11], acc153 // copy acc to vreg[165]
v_accvgpr_read_b32 v[vgprValuC+14], acc169 // copy acc to vreg[166]
v_accvgpr_read_b32 v[vgprValuC+17], acc185 // copy acc to vreg[167]
v_accvgpr_read_b32 v[vgprValuC+20], acc138 // copy acc to vreg[168]
v_accvgpr_read_b32 v[vgprValuC+23], acc154 // copy acc to vreg[169]
v_accvgpr_read_b32 v[vgprValuC+26], acc170 // copy acc to vreg[170]
v_accvgpr_read_b32 v[vgprValuC+29], acc186 // copy acc to vreg[171]
v_accvgpr_read_b32 v[vgprValuC+32], acc139 // copy acc to vreg[172]
v_accvgpr_read_b32 v[vgprValuC+35], acc155 // copy acc to vreg[173]
v_accvgpr_read_b32 v[vgprValuC+38], acc171 // copy acc to vreg[174]
v_accvgpr_read_b32 v[vgprValuC+41], acc187 // copy acc to vreg[175]
v_accvgpr_read_b32 v[vgprValuC+44], acc140 // copy acc to vreg[176]
v_accvgpr_read_b32 v[vgprValuC+47], acc156 // copy acc to vreg[177]
v_accvgpr_read_b32 v[vgprValuC+50], acc172 // copy acc to vreg[178]
v_accvgpr_read_b32 v[vgprValuC+53], acc188 // copy acc to vreg[179]
v_accvgpr_read_b32 v[vgprValuC+56], acc141 // copy acc to vreg[180]
v_accvgpr_read_b32 v[vgprValuC+59], acc157 // copy acc to vreg[181]
v_accvgpr_read_b32 v[vgprValuC+62], acc173 // copy acc to vreg[182]
v_accvgpr_read_b32 v[vgprValuC+65], acc189 // copy acc to vreg[183]
v_accvgpr_read_b32 v[vgprValuC+68], acc142 // copy acc to vreg[184]
v_accvgpr_read_b32 v[vgprValuC+71], acc158 // copy acc to vreg[185]
v_accvgpr_read_b32 v[vgprValuC+74], acc174 // copy acc to vreg[186]
v_accvgpr_read_b32 v[vgprValuC+77], acc190 // copy acc to vreg[187]
v_accvgpr_read_b32 v[vgprValuC+80], acc143 // copy acc to vreg[188]
v_accvgpr_read_b32 v[vgprValuC+83], acc159 // copy acc to vreg[189]
v_accvgpr_read_b32 v[vgprValuC+86], acc175 // copy acc to vreg[190]
v_accvgpr_read_b32 v[vgprValuC+89], acc191 // copy acc to vreg[191]
s_nop 1                                            // 2 wait states required before reading vgpr

/* rC *= alpha batchElements=[(10, 0, 1, 0), (10, 1, 1, 0), (10, 2, 1, 0), (10, 3, 1, 0), (10, 0, 2, 0), (10, 1, 2, 0), (10, 2, 2, 0), (10, 3, 2, 0), (10, 0, 3, 0), (10, 1, 3, 0), (10, 2, 3, 0), (10, 3, 3, 0), (11, 0, 0, 0), (11, 1, 0, 0), (11, 2, 0, 0), (11, 3, 0, 0), (11, 0, 1, 0), (11, 1, 1, 0), (11, 2, 1, 0), (11, 3, 1, 0), (11, 0, 2, 0), (11, 1, 2, 0), (11, 2, 2, 0), (11, 3, 2, 0), (11, 0, 3, 0), (11, 1, 3, 0), (11, 2, 3, 0), (11, 3, 3, 0)] */
v_mul_f32 v[vgprValuC+8], s[sgprAlpha], v[vgprValuC+8] // *= alpha
v_mul_f32 v[vgprValuC+11], s[sgprAlpha], v[vgprValuC+11] // *= alpha
	;; [unrolled: 1-line block ×28, first 2 shown]

/* apply mask, calc new C and issue writes */
v_cvt_f16_f32 v[vgprValuC+8], v[vgprValuC+8]       // convert C to fp16
v_cvt_f16_f32 v[vgprValuC+11], v[vgprValuC+11]     // convert C to fp16
v_cvt_f16_f32 v[vgprValuC+14], v[vgprValuC+14]     // convert C to fp16
	;; [unrolled: 1-line block ×27, first 2 shown]
_buffer_store_b16 v8, v6, s[sgprSrdD:sgprSrdD+3], 0, offen, offset:0,  sc0 sc1 // store D
_buffer_store_b16 v11, v9, s[sgprSrdD:sgprSrdD+3], 0, offen, offset:0,  sc0 sc1 // store D
	;; [unrolled: 1-line block ×28, first 2 shown]
s_nop 0                                            // 1 wait state required when next inst writes vgprs held by previous dwordx4 store inst
s_branch label_GW_End_42                           // jump to end
GW_Beta_43:
s_and_b32 s52, 255, s[sgprSizeI]                   // s52 = s[sgprSizeI] % 256
s_add_u32 s53, -0x1, s[sgprNumWorkGroups0]         // 
s_cmp_ge_u32 s[sgprWorkGroup0], s53                // wg0 >= nwg0-1 ?
s_cselect_b32 s52, s52, 0                          // set rMT0
s_cmpk_gt_u32 s52, 0x0                             // rMT0 > 0
s_cbranch_scc1 GW_B1_E1_41                         // jump if edges required
s_mov_b32 s55, 0x0                                 // STATIC_DIV: divisior=192
s_mul_i32 s54, 0x2aa, s[sgprSizeJ]                 // tmp1 = dividend * magic hi
s_lshl_b64 s[54:55], s[54:55], 0x10                // left shift 16 bits
s_mul_i32 s53, s[sgprSizeJ], 0xaaab                // tmp0 = dividend * magic lo
s_add_u32 s54, s53, s54                            // add lo
s_addc_u32 s55, s55, 0x0                           // add hi
s_lshr_b64 s[54:55], s[54:55], 0x21                // tmp1 = (dividend * magic) << shift
s_mov_b32 s53, s54                                 // quotient
s_mul_i32 s54, s53, 0xc0                           // quotient*divisor
s_sub_u32 s52, s[sgprSizeJ], s54                   // rReg = dividend - quotient*divisor
s_add_u32 s53, -0x1, s[sgprNumWorkGroups1]         // 
s_cmp_ge_u32 s[sgprWorkGroup1], s53                // wg1 >= nwg1-1
s_cselect_b32 s52, s52, 0                          // set rMT1
s_cmpk_gt_u32 s52, 0x0                             // rMT1 > 0
s_cbranch_scc1 GW_B1_E1_41                         // jump if edges required
GW_B1_E0_38:

/* edge=0, allocate 2 sgpr. perBatchTmpS=2 perBatchMaskS=0 perElementMaskS=0 elementsPerBatch=122 */
/* optSingleColVgpr=1 optSharedColVgpr=0 optSGPRUsage=BufferLoad_Mask optSrdIncForRow=1 */
s_sleep 3 // optimization: sync and wait
s_barrier

/******************************************/
/* Global Write Alpha Beta Batch #0 (d1,d0,vc1,vc0) = */
/*    (0,0,0,0:vw1); (0,1,0,0:vw1); (0,2,0,0:vw1); (0,3,0,0:vw1); (0,0,1,0:vw1); (0,1,1,0:vw1); (0,2,1,0:vw1); (0,3,1,0:vw1); (0,0,2,0:vw1); (0,1,2,0:vw1); (0,2,2,0:vw1); (0,3,2,0:vw1); (0,0,3,0:vw1); (0,1,3,0:vw1); (0,2,3,0:vw1); (0,3,3,0:vw1); (1,0,0,0:vw1); (1,1,0,0:vw1); (1,2,0,0:vw1); (1,3,0,0:vw1); (1,0,1,0:vw1); (1,1,1,0:vw1); (1,2,1,0:vw1); (1,3,1,0:vw1); (1,0,2,0:vw1); (1,1,2,0:vw1); (1,2,2,0:vw1); (1,3,2,0:vw1); (1,0,3,0:vw1); (1,1,3,0:vw1); (1,2,3,0:vw1); (1,3,3,0:vw1); (2,0,0,0:vw1); (2,1,0,0:vw1); (2,2,0,0:vw1); (2,3,0,0:vw1); (2,0,1,0:vw1); (2,1,1,0:vw1); (2,2,1,0:vw1); (2,3,1,0:vw1); (2,0,2,0:vw1); (2,1,2,0:vw1); (2,2,2,0:vw1); (2,3,2,0:vw1); (2,0,3,0:vw1); (2,1,3,0:vw1); (2,2,3,0:vw1); (2,3,3,0:vw1); (3,0,0,0:vw1); (3,1,0,0:vw1); (3,2,0,0:vw1); (3,3,0,0:vw1); (3,0,1,0:vw1); (3,1,1,0:vw1); (3,2,1,0:vw1); (3,3,1,0:vw1); (3,0,2,0:vw1); (3,1,2,0:vw1); (3,2,2,0:vw1); (3,3,2,0:vw1); (3,0,3,0:vw1); (3,1,3,0:vw1); (3,2,3,0:vw1); (3,3,3,0:vw1); (4,0,0,0:vw1); (4,1,0,0:vw1); (4,2,0,0:vw1); (4,3,0,0:vw1); (4,0,1,0:vw1); (4,1,1,0:vw1); (4,2,1,0:vw1); (4,3,1,0:vw1); (4,0,2,0:vw1); (4,1,2,0:vw1); (4,2,2,0:vw1); (4,3,2,0:vw1); (4,0,3,0:vw1); (4,1,3,0:vw1); (4,2,3,0:vw1); (4,3,3,0:vw1); (5,0,0,0:vw1); (5,1,0,0:vw1); (5,2,0,0:vw1); (5,3,0,0:vw1); (5,0,1,0:vw1); (5,1,1,0:vw1); (5,2,1,0:vw1); (5,3,1,0:vw1); (5,0,2,0:vw1); (5,1,2,0:vw1); (5,2,2,0:vw1); (5,3,2,0:vw1); (5,0,3,0:vw1); (5,1,3,0:vw1); (5,2,3,0:vw1); (5,3,3,0:vw1); (6,0,0,0:vw1); (6,1,0,0:vw1); (6,2,0,0:vw1); (6,3,0,0:vw1); (6,0,1,0:vw1); (6,1,1,0:vw1); (6,2,1,0:vw1); (6,3,1,0:vw1); (6,0,2,0:vw1); (6,1,2,0:vw1); (6,2,2,0:vw1); (6,3,2,0:vw1); (6,0,3,0:vw1); (6,1,3,0:vw1); (6,2,3,0:vw1); (6,3,3,0:vw1); (7,0,0,0:vw1); (7,1,0,0:vw1); (7,2,0,0:vw1); (7,3,0,0:vw1); (7,0,1,0:vw1); (7,1,1,0:vw1); (7,2,1,0:vw1); (7,3,1,0:vw1); (7,0,2,0:vw1); (7,1,2,0:vw1) */
/******************************************/

/* calc coords, apply mask, and issue loads (if necessary) */
/* (d1,vc1,d0,vc0)=(0,0,0,0) */
_v_add_lshl_u32 v7, v2, v0, 0x1                    // optSingleColVgpr scaleToBpe: sharedAddrVgpr <- cinRowPtr + coord0, scaled by BPE. BSHERE:coord0=0, coord0Vgpr=0
/* (d1,vc1,d0,vc0)=(0,0,1,0) */
/* (d1,vc1,d0,vc0)=(0,0,2,0) */
	;; [unrolled: 1-line block ×121, first 2 shown]
_v_add_lshl_u32 v6, v3, v0, 0x1                    // optSingleColVgpr scaleToBpe: sharedAddrVgpr <- cinRowPtr + coord0, scaled by BPE. BSHERE:coord0=0, coord0Vgpr=0
_buffer_load_d16_b16 v8, v7, s[sgprSrdC:sgprSrdC+3], 0, offen offset:0,  sc0 sc1 // load C for beta calc
_buffer_load_d16_b16 v10, v7, s[sgprSrdC:sgprSrdC+3], 0, offen offset:128,  sc0 sc1 // load C for beta calc
_buffer_load_d16_b16 v12, v7, s[sgprSrdC:sgprSrdC+3], 0, offen offset:256,  sc0 sc1 // load C for beta calc
_buffer_load_d16_b16 v14, v7, s[sgprSrdC:sgprSrdC+3], 0, offen offset:384,  sc0 sc1 // load C for beta calc
s_lshl_b32  s52, s[sgprStrideC1J], 1               // incToNextRow: Scale by BPE
s_add_u32  s[sgprSrdC+0], s[sgprSrdC+0], s52       // incToNextRow: gra SRD += inc(lower)
s_addc_u32  s[sgprSrdC+1], s[sgprSrdC+1], 0        // incToNextRow: gra SRD += inc(upper)
_buffer_load_d16_b16 v16, v7, s[sgprSrdC:sgprSrdC+3], 0, offen offset:0,  sc0 sc1 // load C for beta calc
_buffer_load_d16_b16 v18, v7, s[sgprSrdC:sgprSrdC+3], 0, offen offset:128,  sc0 sc1 // load C for beta calc
_buffer_load_d16_b16 v20, v7, s[sgprSrdC:sgprSrdC+3], 0, offen offset:256,  sc0 sc1 // load C for beta calc
_buffer_load_d16_b16 v22, v7, s[sgprSrdC:sgprSrdC+3], 0, offen offset:384,  sc0 sc1 // load C for beta calc
s_lshl_b32  s52, s[sgprStrideC1J], 1               // incToNextRow: Scale by BPE
s_add_u32  s[sgprSrdC+0], s[sgprSrdC+0], s52       // incToNextRow: gra SRD += inc(lower)
s_addc_u32  s[sgprSrdC+1], s[sgprSrdC+1], 0        // incToNextRow: gra SRD += inc(upper)
_buffer_load_d16_b16 v24, v7, s[sgprSrdC:sgprSrdC+3], 0, offen offset:0,  sc0 sc1 // load C for beta calc
_buffer_load_d16_b16 v26, v7, s[sgprSrdC:sgprSrdC+3], 0, offen offset:128,  sc0 sc1 // load C for beta calc
_buffer_load_d16_b16 v28, v7, s[sgprSrdC:sgprSrdC+3], 0, offen offset:256,  sc0 sc1 // load C for beta calc
_buffer_load_d16_b16 v30, v7, s[sgprSrdC:sgprSrdC+3], 0, offen offset:384,  sc0 sc1 // load C for beta calc
s_lshl_b32  s52, s[sgprStrideC1J], 1               // incToNextRow: Scale by BPE
s_add_u32  s[sgprSrdC+0], s[sgprSrdC+0], s52       // incToNextRow: gra SRD += inc(lower)
s_addc_u32  s[sgprSrdC+1], s[sgprSrdC+1], 0        // incToNextRow: gra SRD += inc(upper)
_buffer_load_d16_b16 v32, v7, s[sgprSrdC:sgprSrdC+3], 0, offen offset:0,  sc0 sc1 // load C for beta calc
_buffer_load_d16_b16 v34, v7, s[sgprSrdC:sgprSrdC+3], 0, offen offset:128,  sc0 sc1 // load C for beta calc
_buffer_load_d16_b16 v36, v7, s[sgprSrdC:sgprSrdC+3], 0, offen offset:256,  sc0 sc1 // load C for beta calc
_buffer_load_d16_b16 v38, v7, s[sgprSrdC:sgprSrdC+3], 0, offen offset:384,  sc0 sc1 // load C for beta calc
s_mul_i32 s52, s[sgprStrideC1J], 10                // scale StrideC *= numRows(5) * bpe
s_add_u32  s[sgprSrdC+0], s[sgprSrdC+0], s52       // incToNextRow: gra SRD += inc(lower)
s_addc_u32  s[sgprSrdC+1], s[sgprSrdC+1], 0        // incToNextRow: gra SRD += inc(upper)
_buffer_load_d16_b16 v40, v7, s[sgprSrdC:sgprSrdC+3], 0, offen offset:0,  sc0 sc1 // load C for beta calc
_buffer_load_d16_b16 v42, v7, s[sgprSrdC:sgprSrdC+3], 0, offen offset:128,  sc0 sc1 // load C for beta calc
_buffer_load_d16_b16 v44, v7, s[sgprSrdC:sgprSrdC+3], 0, offen offset:256,  sc0 sc1 // load C for beta calc
_buffer_load_d16_b16 v46, v7, s[sgprSrdC:sgprSrdC+3], 0, offen offset:384,  sc0 sc1 // load C for beta calc
s_lshl_b32  s52, s[sgprStrideC1J], 1               // incToNextRow: Scale by BPE
s_add_u32  s[sgprSrdC+0], s[sgprSrdC+0], s52       // incToNextRow: gra SRD += inc(lower)
s_addc_u32  s[sgprSrdC+1], s[sgprSrdC+1], 0        // incToNextRow: gra SRD += inc(upper)
_buffer_load_d16_b16 v48, v7, s[sgprSrdC:sgprSrdC+3], 0, offen offset:0,  sc0 sc1 // load C for beta calc
_buffer_load_d16_b16 v50, v7, s[sgprSrdC:sgprSrdC+3], 0, offen offset:128,  sc0 sc1 // load C for beta calc
_buffer_load_d16_b16 v52, v7, s[sgprSrdC:sgprSrdC+3], 0, offen offset:256,  sc0 sc1 // load C for beta calc
_buffer_load_d16_b16 v54, v7, s[sgprSrdC:sgprSrdC+3], 0, offen offset:384,  sc0 sc1 // load C for beta calc
s_lshl_b32  s52, s[sgprStrideC1J], 1               // incToNextRow: Scale by BPE
s_add_u32  s[sgprSrdC+0], s[sgprSrdC+0], s52       // incToNextRow: gra SRD += inc(lower)
s_addc_u32  s[sgprSrdC+1], s[sgprSrdC+1], 0        // incToNextRow: gra SRD += inc(upper)
_buffer_load_d16_b16 v56, v7, s[sgprSrdC:sgprSrdC+3], 0, offen offset:0,  sc0 sc1 // load C for beta calc
_buffer_load_d16_b16 v58, v7, s[sgprSrdC:sgprSrdC+3], 0, offen offset:128,  sc0 sc1 // load C for beta calc
_buffer_load_d16_b16 v60, v7, s[sgprSrdC:sgprSrdC+3], 0, offen offset:256,  sc0 sc1 // load C for beta calc
_buffer_load_d16_b16 v62, v7, s[sgprSrdC:sgprSrdC+3], 0, offen offset:384,  sc0 sc1 // load C for beta calc
s_lshl_b32  s52, s[sgprStrideC1J], 1               // incToNextRow: Scale by BPE
s_add_u32  s[sgprSrdC+0], s[sgprSrdC+0], s52       // incToNextRow: gra SRD += inc(lower)
s_addc_u32  s[sgprSrdC+1], s[sgprSrdC+1], 0        // incToNextRow: gra SRD += inc(upper)
_buffer_load_d16_b16 v64, v7, s[sgprSrdC:sgprSrdC+3], 0, offen offset:0,  sc0 sc1 // load C for beta calc
_buffer_load_d16_b16 v66, v7, s[sgprSrdC:sgprSrdC+3], 0, offen offset:128,  sc0 sc1 // load C for beta calc
_buffer_load_d16_b16 v68, v7, s[sgprSrdC:sgprSrdC+3], 0, offen offset:256,  sc0 sc1 // load C for beta calc
_buffer_load_d16_b16 v70, v7, s[sgprSrdC:sgprSrdC+3], 0, offen offset:384,  sc0 sc1 // load C for beta calc
s_mul_i32 s52, s[sgprStrideC1J], 10                // scale StrideC *= numRows(5) * bpe
s_add_u32  s[sgprSrdC+0], s[sgprSrdC+0], s52       // incToNextRow: gra SRD += inc(lower)
s_addc_u32  s[sgprSrdC+1], s[sgprSrdC+1], 0        // incToNextRow: gra SRD += inc(upper)
	;; [unrolled: 28-line block ×7, first 2 shown]
_buffer_load_d16_b16 v235, v7, s[sgprSrdC:sgprSrdC+3], 0, offen offset:0,  sc0 sc1 // load C for beta calc
_buffer_load_d16_b16 v237, v7, s[sgprSrdC:sgprSrdC+3], 0, offen offset:128,  sc0 sc1 // load C for beta calc
	;; [unrolled: 1-line block ×4, first 2 shown]
s_lshl_b32  s52, s[sgprStrideC1J], 1               // incToNextRow: Scale by BPE
s_add_u32  s[sgprSrdC+0], s[sgprSrdC+0], s52       // incToNextRow: gra SRD += inc(lower)
s_addc_u32  s[sgprSrdC+1], s[sgprSrdC+1], 0        // incToNextRow: gra SRD += inc(upper)
_buffer_load_d16_b16 v243, v7, s[sgprSrdC:sgprSrdC+3], 0, offen offset:0,  sc0 sc1 // load C for beta calc
_buffer_load_d16_b16 v245, v7, s[sgprSrdC:sgprSrdC+3], 0, offen offset:128,  sc0 sc1 // load C for beta calc
	;; [unrolled: 1-line block ×4, first 2 shown]
s_lshl_b32  s52, s[sgprStrideC1J], 1               // incToNextRow: Scale by BPE
s_add_u32  s[sgprSrdC+0], s[sgprSrdC+0], s52       // incToNextRow: gra SRD += inc(lower)
s_addc_u32  s[sgprSrdC+1], s[sgprSrdC+1], 0        // incToNextRow: gra SRD += inc(upper)
_buffer_load_d16_b16 v251, v7, s[sgprSrdC:sgprSrdC+3], 0, offen offset:0,  sc0 sc1 // load C for beta calc
_buffer_load_d16_b16 v253, v7, s[sgprSrdC:sgprSrdC+3], 0, offen offset:128,  sc0 sc1 // load C for beta calc
s_sleep 3 // optimization: sync and wait
s_barrier
v_accvgpr_read_b32 v[vgprValuC+9], acc0 // copy acc to vreg[0]
v_accvgpr_read_b32 v[vgprValuC+11], acc16 // copy acc to vreg[1]
v_accvgpr_read_b32 v[vgprValuC+13], acc32 // copy acc to vreg[2]
v_accvgpr_read_b32 v[vgprValuC+15], acc48 // copy acc to vreg[3]
v_accvgpr_read_b32 v[vgprValuC+17], acc1 // copy acc to vreg[4]
v_accvgpr_read_b32 v[vgprValuC+19], acc17 // copy acc to vreg[5]
v_accvgpr_read_b32 v[vgprValuC+21], acc33 // copy acc to vreg[6]
v_accvgpr_read_b32 v[vgprValuC+23], acc49 // copy acc to vreg[7]
v_accvgpr_read_b32 v[vgprValuC+25], acc2 // copy acc to vreg[8]
v_accvgpr_read_b32 v[vgprValuC+27], acc18 // copy acc to vreg[9]
v_accvgpr_read_b32 v[vgprValuC+29], acc34 // copy acc to vreg[10]
v_accvgpr_read_b32 v[vgprValuC+31], acc50 // copy acc to vreg[11]
v_accvgpr_read_b32 v[vgprValuC+33], acc3 // copy acc to vreg[12]
v_accvgpr_read_b32 v[vgprValuC+35], acc19 // copy acc to vreg[13]
v_accvgpr_read_b32 v[vgprValuC+37], acc35 // copy acc to vreg[14]
v_accvgpr_read_b32 v[vgprValuC+39], acc51 // copy acc to vreg[15]
v_accvgpr_read_b32 v[vgprValuC+41], acc4 // copy acc to vreg[16]
v_accvgpr_read_b32 v[vgprValuC+43], acc20 // copy acc to vreg[17]
v_accvgpr_read_b32 v[vgprValuC+45], acc36 // copy acc to vreg[18]
v_accvgpr_read_b32 v[vgprValuC+47], acc52 // copy acc to vreg[19]
v_accvgpr_read_b32 v[vgprValuC+49], acc5 // copy acc to vreg[20]
v_accvgpr_read_b32 v[vgprValuC+51], acc21 // copy acc to vreg[21]
v_accvgpr_read_b32 v[vgprValuC+53], acc37 // copy acc to vreg[22]
v_accvgpr_read_b32 v[vgprValuC+55], acc53 // copy acc to vreg[23]
v_accvgpr_read_b32 v[vgprValuC+57], acc6 // copy acc to vreg[24]
v_accvgpr_read_b32 v[vgprValuC+59], acc22 // copy acc to vreg[25]
v_accvgpr_read_b32 v[vgprValuC+61], acc38 // copy acc to vreg[26]
v_accvgpr_read_b32 v[vgprValuC+63], acc54 // copy acc to vreg[27]
v_accvgpr_read_b32 v[vgprValuC+65], acc7 // copy acc to vreg[28]
v_accvgpr_read_b32 v[vgprValuC+67], acc23 // copy acc to vreg[29]
v_accvgpr_read_b32 v[vgprValuC+69], acc39 // copy acc to vreg[30]
v_accvgpr_read_b32 v[vgprValuC+71], acc55 // copy acc to vreg[31]
v_accvgpr_read_b32 v[vgprValuC+73], acc8 // copy acc to vreg[32]
v_accvgpr_read_b32 v[vgprValuC+75], acc24 // copy acc to vreg[33]
v_accvgpr_read_b32 v[vgprValuC+77], acc40 // copy acc to vreg[34]
v_accvgpr_read_b32 v[vgprValuC+79], acc56 // copy acc to vreg[35]
v_accvgpr_read_b32 v[vgprValuC+81], acc9 // copy acc to vreg[36]
v_accvgpr_read_b32 v[vgprValuC+83], acc25 // copy acc to vreg[37]
v_accvgpr_read_b32 v[vgprValuC+85], acc41 // copy acc to vreg[38]
v_accvgpr_read_b32 v[vgprValuC+87], acc57 // copy acc to vreg[39]
v_accvgpr_read_b32 v[vgprValuC+89], acc10 // copy acc to vreg[40]
v_accvgpr_read_b32 v[vgprValuC+91], acc26 // copy acc to vreg[41]
v_accvgpr_read_b32 v[vgprValuC+93], acc42 // copy acc to vreg[42]
v_accvgpr_read_b32 v[vgprValuC+95], acc58 // copy acc to vreg[43]
v_accvgpr_read_b32 v[vgprValuC+97], acc11 // copy acc to vreg[44]
v_accvgpr_read_b32 v[vgprValuC+99], acc27 // copy acc to vreg[45]
v_accvgpr_read_b32 v[vgprValuC+101], acc43 // copy acc to vreg[46]
v_accvgpr_read_b32 v[vgprValuC+103], acc59 // copy acc to vreg[47]
v_accvgpr_read_b32 v[vgprValuC+105], acc12 // copy acc to vreg[48]
v_accvgpr_read_b32 v[vgprValuC+107], acc28 // copy acc to vreg[49]
v_accvgpr_read_b32 v[vgprValuC+109], acc44 // copy acc to vreg[50]
v_accvgpr_read_b32 v[vgprValuC+111], acc60 // copy acc to vreg[51]
v_accvgpr_read_b32 v[vgprValuC+113], acc13 // copy acc to vreg[52]
v_accvgpr_read_b32 v[vgprValuC+115], acc29 // copy acc to vreg[53]
v_accvgpr_read_b32 v[vgprValuC+117], acc45 // copy acc to vreg[54]
v_accvgpr_read_b32 v[vgprValuC+119], acc61 // copy acc to vreg[55]
v_accvgpr_read_b32 v[vgprValuC+121], acc14 // copy acc to vreg[56]
v_accvgpr_read_b32 v[vgprValuC+123], acc30 // copy acc to vreg[57]
v_accvgpr_read_b32 v[vgprValuC+125], acc46 // copy acc to vreg[58]
v_accvgpr_read_b32 v[vgprValuC+127], acc62 // copy acc to vreg[59]
v_accvgpr_read_b32 v[vgprValuC+129], acc15 // copy acc to vreg[60]
v_accvgpr_read_b32 v[vgprValuC+131], acc31 // copy acc to vreg[61]
v_accvgpr_read_b32 v[vgprValuC+133], acc47 // copy acc to vreg[62]
v_accvgpr_read_b32 v[vgprValuC+135], acc63 // copy acc to vreg[63]
v_accvgpr_read_b32 v[vgprValuC+137], acc64 // copy acc to vreg[64]
v_accvgpr_read_b32 v[vgprValuC+139], acc80 // copy acc to vreg[65]
v_accvgpr_read_b32 v[vgprValuC+141], acc96 // copy acc to vreg[66]
v_accvgpr_read_b32 v[vgprValuC+143], acc112 // copy acc to vreg[67]
v_accvgpr_read_b32 v[vgprValuC+145], acc65 // copy acc to vreg[68]
v_accvgpr_read_b32 v[vgprValuC+147], acc81 // copy acc to vreg[69]
v_accvgpr_read_b32 v[vgprValuC+149], acc97 // copy acc to vreg[70]
v_accvgpr_read_b32 v[vgprValuC+151], acc113 // copy acc to vreg[71]
v_accvgpr_read_b32 v[vgprValuC+153], acc66 // copy acc to vreg[72]
v_accvgpr_read_b32 v[vgprValuC+155], acc82 // copy acc to vreg[73]
v_accvgpr_read_b32 v[vgprValuC+157], acc98 // copy acc to vreg[74]
v_accvgpr_read_b32 v[vgprValuC+159], acc114 // copy acc to vreg[75]
v_accvgpr_read_b32 v[vgprValuC+161], acc67 // copy acc to vreg[76]
v_accvgpr_read_b32 v[vgprValuC+163], acc83 // copy acc to vreg[77]
v_accvgpr_read_b32 v[vgprValuC+165], acc99 // copy acc to vreg[78]
v_accvgpr_read_b32 v[vgprValuC+167], acc115 // copy acc to vreg[79]
v_accvgpr_read_b32 v[vgprValuC+169], acc68 // copy acc to vreg[80]
v_accvgpr_read_b32 v[vgprValuC+171], acc84 // copy acc to vreg[81]
v_accvgpr_read_b32 v[vgprValuC+176], acc100 // copy acc to vreg[82]
v_accvgpr_read_b32 v[vgprValuC+178], acc116 // copy acc to vreg[83]
v_accvgpr_read_b32 v[vgprValuC+180], acc69 // copy acc to vreg[84]
v_accvgpr_read_b32 v[vgprValuC+182], acc85 // copy acc to vreg[85]
v_accvgpr_read_b32 v[vgprValuC+184], acc101 // copy acc to vreg[86]
v_accvgpr_read_b32 v[vgprValuC+186], acc117 // copy acc to vreg[87]
v_accvgpr_read_b32 v[vgprValuC+188], acc70 // copy acc to vreg[88]
v_accvgpr_read_b32 v[vgprValuC+190], acc86 // copy acc to vreg[89]
v_accvgpr_read_b32 v[vgprValuC+192], acc102 // copy acc to vreg[90]
v_accvgpr_read_b32 v[vgprValuC+194], acc118 // copy acc to vreg[91]
v_accvgpr_read_b32 v[vgprValuC+196], acc71 // copy acc to vreg[92]
v_accvgpr_read_b32 v[vgprValuC+198], acc87 // copy acc to vreg[93]
v_accvgpr_read_b32 v[vgprValuC+200], acc103 // copy acc to vreg[94]
v_accvgpr_read_b32 v[vgprValuC+202], acc119 // copy acc to vreg[95]
v_accvgpr_read_b32 v[vgprValuC+204], acc72 // copy acc to vreg[96]
v_accvgpr_read_b32 v[vgprValuC+206], acc88 // copy acc to vreg[97]
v_accvgpr_read_b32 v[vgprValuC+208], acc104 // copy acc to vreg[98]
v_accvgpr_read_b32 v[vgprValuC+210], acc120 // copy acc to vreg[99]
v_accvgpr_read_b32 v[vgprValuC+212], acc73 // copy acc to vreg[100]
v_accvgpr_read_b32 v[vgprValuC+214], acc89 // copy acc to vreg[101]
v_accvgpr_read_b32 v[vgprValuC+216], acc105 // copy acc to vreg[102]
v_accvgpr_read_b32 v[vgprValuC+218], acc121 // copy acc to vreg[103]
v_accvgpr_read_b32 v[vgprValuC+220], acc74 // copy acc to vreg[104]
v_accvgpr_read_b32 v[vgprValuC+222], acc90 // copy acc to vreg[105]
v_accvgpr_read_b32 v[vgprValuC+224], acc106 // copy acc to vreg[106]
v_accvgpr_read_b32 v[vgprValuC+226], acc122 // copy acc to vreg[107]
v_accvgpr_read_b32 v[vgprValuC+228], acc75 // copy acc to vreg[108]
v_accvgpr_read_b32 v[vgprValuC+230], acc91 // copy acc to vreg[109]
v_accvgpr_read_b32 v[vgprValuC+232], acc107 // copy acc to vreg[110]
v_accvgpr_read_b32 v[vgprValuC+234], acc123 // copy acc to vreg[111]
v_accvgpr_read_b32 v[vgprValuC+236], acc76 // copy acc to vreg[112]
v_accvgpr_read_b32 v[vgprValuC+238], acc92 // copy acc to vreg[113]
v_accvgpr_read_b32 v[vgprValuC+240], acc108 // copy acc to vreg[114]
v_accvgpr_read_b32 v[vgprValuC+242], acc124 // copy acc to vreg[115]
v_accvgpr_read_b32 v[vgprValuC+244], acc77 // copy acc to vreg[116]
v_accvgpr_read_b32 v[vgprValuC+246], acc93 // copy acc to vreg[117]
v_accvgpr_read_b32 v[vgprValuC+248], acc109 // copy acc to vreg[118]
v_accvgpr_read_b32 v[vgprValuC+250], acc125 // copy acc to vreg[119]
v_accvgpr_read_b32 v[vgprValuC+252], acc78 // copy acc to vreg[120]
v_accvgpr_read_b32 v[vgprValuC+254], acc94 // copy acc to vreg[121]
s_nop 1                                            // 2 wait states required before reading vgpr

/* rC *= alpha batchElements=[(0, 0, 0, 0), (0, 1, 0, 0), (0, 2, 0, 0), (0, 3, 0, 0), (0, 0, 1, 0), (0, 1, 1, 0), (0, 2, 1, 0), (0, 3, 1, 0), (0, 0, 2, 0), (0, 1, 2, 0), (0, 2, 2, 0), (0, 3, 2, 0), (0, 0, 3, 0), (0, 1, 3, 0), (0, 2, 3, 0), (0, 3, 3, 0), (1, 0, 0, 0), (1, 1, 0, 0), (1, 2, 0, 0), (1, 3, 0, 0), (1, 0, 1, 0), (1, 1, 1, 0), (1, 2, 1, 0), (1, 3, 1, 0), (1, 0, 2, 0), (1, 1, 2, 0), (1, 2, 2, 0), (1, 3, 2, 0), (1, 0, 3, 0), (1, 1, 3, 0), (1, 2, 3, 0), (1, 3, 3, 0), (2, 0, 0, 0), (2, 1, 0, 0), (2, 2, 0, 0), (2, 3, 0, 0), (2, 0, 1, 0), (2, 1, 1, 0), (2, 2, 1, 0), (2, 3, 1, 0), (2, 0, 2, 0), (2, 1, 2, 0), (2, 2, 2, 0), (2, 3, 2, 0), (2, 0, 3, 0), (2, 1, 3, 0), (2, 2, 3, 0), (2, 3, 3, 0), (3, 0, 0, 0), (3, 1, 0, 0), (3, 2, 0, 0), (3, 3, 0, 0), (3, 0, 1, 0), (3, 1, 1, 0), (3, 2, 1, 0), (3, 3, 1, 0), (3, 0, 2, 0), (3, 1, 2, 0), (3, 2, 2, 0), (3, 3, 2, 0), (3, 0, 3, 0), (3, 1, 3, 0), (3, 2, 3, 0), (3, 3, 3, 0), (4, 0, 0, 0), (4, 1, 0, 0), (4, 2, 0, 0), (4, 3, 0, 0), (4, 0, 1, 0), (4, 1, 1, 0), (4, 2, 1, 0), (4, 3, 1, 0), (4, 0, 2, 0), (4, 1, 2, 0), (4, 2, 2, 0), (4, 3, 2, 0), (4, 0, 3, 0), (4, 1, 3, 0), (4, 2, 3, 0), (4, 3, 3, 0), (5, 0, 0, 0), (5, 1, 0, 0), (5, 2, 0, 0), (5, 3, 0, 0), (5, 0, 1, 0), (5, 1, 1, 0), (5, 2, 1, 0), (5, 3, 1, 0), (5, 0, 2, 0), (5, 1, 2, 0), (5, 2, 2, 0), (5, 3, 2, 0), (5, 0, 3, 0), (5, 1, 3, 0), (5, 2, 3, 0), (5, 3, 3, 0), (6, 0, 0, 0), (6, 1, 0, 0), (6, 2, 0, 0), (6, 3, 0, 0), (6, 0, 1, 0), (6, 1, 1, 0), (6, 2, 1, 0), (6, 3, 1, 0), (6, 0, 2, 0), (6, 1, 2, 0), (6, 2, 2, 0), (6, 3, 2, 0), (6, 0, 3, 0), (6, 1, 3, 0), (6, 2, 3, 0), (6, 3, 3, 0), (7, 0, 0, 0), (7, 1, 0, 0), (7, 2, 0, 0), (7, 3, 0, 0), (7, 0, 1, 0), (7, 1, 1, 0), (7, 2, 1, 0), (7, 3, 1, 0), (7, 0, 2, 0), (7, 1, 2, 0)] */
v_mul_f32 v[vgprValuC+9], s[sgprAlpha], v[vgprValuC+9] // *= alpha
v_mul_f32 v[vgprValuC+11], s[sgprAlpha], v[vgprValuC+11] // *= alpha
	;; [unrolled: 1-line block ×122, first 2 shown]
s_waitcnt vmcnt(0)                                 // wait C

/* apply mask, calc new C and issue writes */
v_fma_mix_f32 v[vgprValuC+9], s[sgprBeta], v8, v[vgprValuC+9], op_sel:[0,0,0] op_sel_hi:[0,1,0] // //C*=beta
v_cvt_f16_f32 v[vgprValuC+9], v[vgprValuC+9]       // convert C to fp16
v_fma_mix_f32 v[vgprValuC+11], s[sgprBeta], v10, v[vgprValuC+11], op_sel:[0,0,0] op_sel_hi:[0,1,0] // //C*=beta
v_cvt_f16_f32 v[vgprValuC+11], v[vgprValuC+11]     // convert C to fp16
v_fma_mix_f32 v[vgprValuC+13], s[sgprBeta], v12, v[vgprValuC+13], op_sel:[0,0,0] op_sel_hi:[0,1,0] // //C*=beta
v_cvt_f16_f32 v[vgprValuC+13], v[vgprValuC+13]     // convert C to fp16
	;; [unrolled: 2-line block ×45, first 2 shown]
v_fma_mix_f32 v[vgprValuC+101], s[sgprBeta], v100, v[vgprValuC+101], op_sel:[0,0,0] op_sel_hi:[0,1,0] // //C*=beta
v_cvt_f16_f32 v[vgprValuC+101], v[vgprValuC+101]   // convert C to fp16
v_fma_mix_f32 v[vgprValuC+103], s[sgprBeta], v102, v[vgprValuC+103], op_sel:[0,0,0] op_sel_hi:[0,1,0] // //C*=beta
v_cvt_f16_f32 v[vgprValuC+103], v[vgprValuC+103]   // convert C to fp16
	;; [unrolled: 2-line block ×76, first 2 shown]
_buffer_store_b16 v9, v6, s[sgprSrdD:sgprSrdD+3], 0, offen, offset:0,  sc0 sc1 // store D
_buffer_store_b16 v11, v6, s[sgprSrdD:sgprSrdD+3], 0, offen, offset:128,  sc0 sc1 // store D
_buffer_store_b16 v13, v6, s[sgprSrdD:sgprSrdD+3], 0, offen, offset:256,  sc0 sc1 // store D
_buffer_store_b16 v15, v6, s[sgprSrdD:sgprSrdD+3], 0, offen, offset:384,  sc0 sc1 // store D
s_lshl_b32  s52, s[sgprStrideD1J], 1               // incToNextRow: Scale by BPE
s_add_u32  s[sgprSrdD+0], s[sgprSrdD+0], s52       // incToNextRow: gra SRD += inc(lower)
s_addc_u32  s[sgprSrdD+1], s[sgprSrdD+1], 0        // incToNextRow: gra SRD += inc(upper)
_buffer_store_b16 v17, v6, s[sgprSrdD:sgprSrdD+3], 0, offen, offset:0,  sc0 sc1 // store D
_buffer_store_b16 v19, v6, s[sgprSrdD:sgprSrdD+3], 0, offen, offset:128,  sc0 sc1 // store D
_buffer_store_b16 v21, v6, s[sgprSrdD:sgprSrdD+3], 0, offen, offset:256,  sc0 sc1 // store D
_buffer_store_b16 v23, v6, s[sgprSrdD:sgprSrdD+3], 0, offen, offset:384,  sc0 sc1 // store D
s_lshl_b32  s52, s[sgprStrideD1J], 1               // incToNextRow: Scale by BPE
s_add_u32  s[sgprSrdD+0], s[sgprSrdD+0], s52       // incToNextRow: gra SRD += inc(lower)
s_addc_u32  s[sgprSrdD+1], s[sgprSrdD+1], 0        // incToNextRow: gra SRD += inc(upper)
_buffer_store_b16 v25, v6, s[sgprSrdD:sgprSrdD+3], 0, offen, offset:0,  sc0 sc1 // store D
_buffer_store_b16 v27, v6, s[sgprSrdD:sgprSrdD+3], 0, offen, offset:128,  sc0 sc1 // store D
_buffer_store_b16 v29, v6, s[sgprSrdD:sgprSrdD+3], 0, offen, offset:256,  sc0 sc1 // store D
_buffer_store_b16 v31, v6, s[sgprSrdD:sgprSrdD+3], 0, offen, offset:384,  sc0 sc1 // store D
s_lshl_b32  s52, s[sgprStrideD1J], 1               // incToNextRow: Scale by BPE
s_add_u32  s[sgprSrdD+0], s[sgprSrdD+0], s52       // incToNextRow: gra SRD += inc(lower)
s_addc_u32  s[sgprSrdD+1], s[sgprSrdD+1], 0        // incToNextRow: gra SRD += inc(upper)
_buffer_store_b16 v33, v6, s[sgprSrdD:sgprSrdD+3], 0, offen, offset:0,  sc0 sc1 // store D
_buffer_store_b16 v35, v6, s[sgprSrdD:sgprSrdD+3], 0, offen, offset:128,  sc0 sc1 // store D
_buffer_store_b16 v37, v6, s[sgprSrdD:sgprSrdD+3], 0, offen, offset:256,  sc0 sc1 // store D
_buffer_store_b16 v39, v6, s[sgprSrdD:sgprSrdD+3], 0, offen, offset:384,  sc0 sc1 // store D
s_mul_i32 s52, s[sgprStrideD1J], 10                // scale StrideD *= numRows(5) * bpe
s_add_u32  s[sgprSrdD+0], s[sgprSrdD+0], s52       // incToNextRow: gra SRD += inc(lower)
s_addc_u32  s[sgprSrdD+1], s[sgprSrdD+1], 0        // incToNextRow: gra SRD += inc(upper)
_buffer_store_b16 v41, v6, s[sgprSrdD:sgprSrdD+3], 0, offen, offset:0,  sc0 sc1 // store D
_buffer_store_b16 v43, v6, s[sgprSrdD:sgprSrdD+3], 0, offen, offset:128,  sc0 sc1 // store D
_buffer_store_b16 v45, v6, s[sgprSrdD:sgprSrdD+3], 0, offen, offset:256,  sc0 sc1 // store D
_buffer_store_b16 v47, v6, s[sgprSrdD:sgprSrdD+3], 0, offen, offset:384,  sc0 sc1 // store D
s_lshl_b32  s52, s[sgprStrideD1J], 1               // incToNextRow: Scale by BPE
s_add_u32  s[sgprSrdD+0], s[sgprSrdD+0], s52       // incToNextRow: gra SRD += inc(lower)
s_addc_u32  s[sgprSrdD+1], s[sgprSrdD+1], 0        // incToNextRow: gra SRD += inc(upper)
_buffer_store_b16 v49, v6, s[sgprSrdD:sgprSrdD+3], 0, offen, offset:0,  sc0 sc1 // store D
_buffer_store_b16 v51, v6, s[sgprSrdD:sgprSrdD+3], 0, offen, offset:128,  sc0 sc1 // store D
_buffer_store_b16 v53, v6, s[sgprSrdD:sgprSrdD+3], 0, offen, offset:256,  sc0 sc1 // store D
_buffer_store_b16 v55, v6, s[sgprSrdD:sgprSrdD+3], 0, offen, offset:384,  sc0 sc1 // store D
s_lshl_b32  s52, s[sgprStrideD1J], 1               // incToNextRow: Scale by BPE
s_add_u32  s[sgprSrdD+0], s[sgprSrdD+0], s52       // incToNextRow: gra SRD += inc(lower)
s_addc_u32  s[sgprSrdD+1], s[sgprSrdD+1], 0        // incToNextRow: gra SRD += inc(upper)
_buffer_store_b16 v57, v6, s[sgprSrdD:sgprSrdD+3], 0, offen, offset:0,  sc0 sc1 // store D
_buffer_store_b16 v59, v6, s[sgprSrdD:sgprSrdD+3], 0, offen, offset:128,  sc0 sc1 // store D
_buffer_store_b16 v61, v6, s[sgprSrdD:sgprSrdD+3], 0, offen, offset:256,  sc0 sc1 // store D
_buffer_store_b16 v63, v6, s[sgprSrdD:sgprSrdD+3], 0, offen, offset:384,  sc0 sc1 // store D
s_lshl_b32  s52, s[sgprStrideD1J], 1               // incToNextRow: Scale by BPE
s_add_u32  s[sgprSrdD+0], s[sgprSrdD+0], s52       // incToNextRow: gra SRD += inc(lower)
s_addc_u32  s[sgprSrdD+1], s[sgprSrdD+1], 0        // incToNextRow: gra SRD += inc(upper)
_buffer_store_b16 v65, v6, s[sgprSrdD:sgprSrdD+3], 0, offen, offset:0,  sc0 sc1 // store D
_buffer_store_b16 v67, v6, s[sgprSrdD:sgprSrdD+3], 0, offen, offset:128,  sc0 sc1 // store D
_buffer_store_b16 v69, v6, s[sgprSrdD:sgprSrdD+3], 0, offen, offset:256,  sc0 sc1 // store D
_buffer_store_b16 v71, v6, s[sgprSrdD:sgprSrdD+3], 0, offen, offset:384,  sc0 sc1 // store D
s_mul_i32 s52, s[sgprStrideD1J], 10                // scale StrideD *= numRows(5) * bpe
s_add_u32  s[sgprSrdD+0], s[sgprSrdD+0], s52       // incToNextRow: gra SRD += inc(lower)
s_addc_u32  s[sgprSrdD+1], s[sgprSrdD+1], 0        // incToNextRow: gra SRD += inc(upper)
	;; [unrolled: 28-line block ×7, first 2 shown]
_buffer_store_b16 v236, v6, s[sgprSrdD:sgprSrdD+3], 0, offen, offset:0,  sc0 sc1 // store D
_buffer_store_b16 v238, v6, s[sgprSrdD:sgprSrdD+3], 0, offen, offset:128,  sc0 sc1 // store D
	;; [unrolled: 1-line block ×4, first 2 shown]
s_lshl_b32  s52, s[sgprStrideD1J], 1               // incToNextRow: Scale by BPE
s_add_u32  s[sgprSrdD+0], s[sgprSrdD+0], s52       // incToNextRow: gra SRD += inc(lower)
s_addc_u32  s[sgprSrdD+1], s[sgprSrdD+1], 0        // incToNextRow: gra SRD += inc(upper)
_buffer_store_b16 v244, v6, s[sgprSrdD:sgprSrdD+3], 0, offen, offset:0,  sc0 sc1 // store D
_buffer_store_b16 v246, v6, s[sgprSrdD:sgprSrdD+3], 0, offen, offset:128,  sc0 sc1 // store D
	;; [unrolled: 1-line block ×4, first 2 shown]
s_lshl_b32  s52, s[sgprStrideD1J], 1               // incToNextRow: Scale by BPE
s_add_u32  s[sgprSrdD+0], s[sgprSrdD+0], s52       // incToNextRow: gra SRD += inc(lower)
s_addc_u32  s[sgprSrdD+1], s[sgprSrdD+1], 0        // incToNextRow: gra SRD += inc(upper)
_buffer_store_b16 v252, v6, s[sgprSrdD:sgprSrdD+3], 0, offen, offset:0,  sc0 sc1 // store D
_buffer_store_b16 v254, v6, s[sgprSrdD:sgprSrdD+3], 0, offen, offset:128,  sc0 sc1 // store D
s_nop 0                                            // 1 wait state required when next inst writes vgprs held by previous dwordx4 store inst
/* optSingleColVgpr=1 optSharedColVgpr=0 optSGPRUsage=BufferLoad_Mask optSrdIncForRow=1 */
s_sleep 3 // optimization: sync and wait
s_barrier

/******************************************/
/* Global Write Alpha Beta Batch #1 (d1,d0,vc1,vc0) = */
/*    (7,2,2,0:vw1); (7,3,2,0:vw1); (7,0,3,0:vw1); (7,1,3,0:vw1); (7,2,3,0:vw1); (7,3,3,0:vw1); (8,0,0,0:vw1); (8,1,0,0:vw1); (8,2,0,0:vw1); (8,3,0,0:vw1); (8,0,1,0:vw1); (8,1,1,0:vw1); (8,2,1,0:vw1); (8,3,1,0:vw1); (8,0,2,0:vw1); (8,1,2,0:vw1); (8,2,2,0:vw1); (8,3,2,0:vw1); (8,0,3,0:vw1); (8,1,3,0:vw1); (8,2,3,0:vw1); (8,3,3,0:vw1); (9,0,0,0:vw1); (9,1,0,0:vw1); (9,2,0,0:vw1); (9,3,0,0:vw1); (9,0,1,0:vw1); (9,1,1,0:vw1); (9,2,1,0:vw1); (9,3,1,0:vw1); (9,0,2,0:vw1); (9,1,2,0:vw1); (9,2,2,0:vw1); (9,3,2,0:vw1); (9,0,3,0:vw1); (9,1,3,0:vw1); (9,2,3,0:vw1); (9,3,3,0:vw1); (10,0,0,0:vw1); (10,1,0,0:vw1); (10,2,0,0:vw1); (10,3,0,0:vw1); (10,0,1,0:vw1); (10,1,1,0:vw1); (10,2,1,0:vw1); (10,3,1,0:vw1); (10,0,2,0:vw1); (10,1,2,0:vw1); (10,2,2,0:vw1); (10,3,2,0:vw1); (10,0,3,0:vw1); (10,1,3,0:vw1); (10,2,3,0:vw1); (10,3,3,0:vw1); (11,0,0,0:vw1); (11,1,0,0:vw1); (11,2,0,0:vw1); (11,3,0,0:vw1); (11,0,1,0:vw1); (11,1,1,0:vw1); (11,2,1,0:vw1); (11,3,1,0:vw1); (11,0,2,0:vw1); (11,1,2,0:vw1); (11,2,2,0:vw1); (11,3,2,0:vw1); (11,0,3,0:vw1); (11,1,3,0:vw1); (11,2,3,0:vw1); (11,3,3,0:vw1) */
/******************************************/

/* calc coords, apply mask, and issue loads (if necessary) */
/* (d1,vc1,d0,vc0)=(7,2,2,0) */
/* (d1,vc1,d0,vc0)=(7,2,3,0) */
	;; [unrolled: 1-line block ×70, first 2 shown]
_buffer_load_d16_b16 v8, v7, s[sgprSrdC:sgprSrdC+3], 0, offen offset:256,  sc0 sc1 // load C for beta calc
_buffer_load_d16_b16 v10, v7, s[sgprSrdC:sgprSrdC+3], 0, offen offset:384,  sc0 sc1 // load C for beta calc
s_lshl_b32  s52, s[sgprStrideC1J], 1               // incToNextRow: Scale by BPE
s_add_u32  s[sgprSrdC+0], s[sgprSrdC+0], s52       // incToNextRow: gra SRD += inc(lower)
s_addc_u32  s[sgprSrdC+1], s[sgprSrdC+1], 0        // incToNextRow: gra SRD += inc(upper)
_buffer_load_d16_b16 v12, v7, s[sgprSrdC:sgprSrdC+3], 0, offen offset:0,  sc0 sc1 // load C for beta calc
_buffer_load_d16_b16 v14, v7, s[sgprSrdC:sgprSrdC+3], 0, offen offset:128,  sc0 sc1 // load C for beta calc
_buffer_load_d16_b16 v16, v7, s[sgprSrdC:sgprSrdC+3], 0, offen offset:256,  sc0 sc1 // load C for beta calc
_buffer_load_d16_b16 v18, v7, s[sgprSrdC:sgprSrdC+3], 0, offen offset:384,  sc0 sc1 // load C for beta calc
s_mul_i32 s52, s[sgprStrideC1J], 74                // scale StrideC *= numRows(37) * bpe
s_add_u32  s[sgprSrdC+0], s[sgprSrdC+0], s52       // incToNextRow: gra SRD += inc(lower)
s_addc_u32  s[sgprSrdC+1], s[sgprSrdC+1], 0        // incToNextRow: gra SRD += inc(upper)
_buffer_load_d16_b16 v20, v7, s[sgprSrdC:sgprSrdC+3], 0, offen offset:0,  sc0 sc1 // load C for beta calc
_buffer_load_d16_b16 v22, v7, s[sgprSrdC:sgprSrdC+3], 0, offen offset:128,  sc0 sc1 // load C for beta calc
_buffer_load_d16_b16 v24, v7, s[sgprSrdC:sgprSrdC+3], 0, offen offset:256,  sc0 sc1 // load C for beta calc
_buffer_load_d16_b16 v26, v7, s[sgprSrdC:sgprSrdC+3], 0, offen offset:384,  sc0 sc1 // load C for beta calc
s_lshl_b32  s52, s[sgprStrideC1J], 1               // incToNextRow: Scale by BPE
s_add_u32  s[sgprSrdC+0], s[sgprSrdC+0], s52       // incToNextRow: gra SRD += inc(lower)
s_addc_u32  s[sgprSrdC+1], s[sgprSrdC+1], 0        // incToNextRow: gra SRD += inc(upper)
_buffer_load_d16_b16 v28, v7, s[sgprSrdC:sgprSrdC+3], 0, offen offset:0,  sc0 sc1 // load C for beta calc
_buffer_load_d16_b16 v30, v7, s[sgprSrdC:sgprSrdC+3], 0, offen offset:128,  sc0 sc1 // load C for beta calc
_buffer_load_d16_b16 v32, v7, s[sgprSrdC:sgprSrdC+3], 0, offen offset:256,  sc0 sc1 // load C for beta calc
_buffer_load_d16_b16 v34, v7, s[sgprSrdC:sgprSrdC+3], 0, offen offset:384,  sc0 sc1 // load C for beta calc
s_lshl_b32  s52, s[sgprStrideC1J], 1               // incToNextRow: Scale by BPE
s_add_u32  s[sgprSrdC+0], s[sgprSrdC+0], s52       // incToNextRow: gra SRD += inc(lower)
s_addc_u32  s[sgprSrdC+1], s[sgprSrdC+1], 0        // incToNextRow: gra SRD += inc(upper)
_buffer_load_d16_b16 v36, v7, s[sgprSrdC:sgprSrdC+3], 0, offen offset:0,  sc0 sc1 // load C for beta calc
_buffer_load_d16_b16 v38, v7, s[sgprSrdC:sgprSrdC+3], 0, offen offset:128,  sc0 sc1 // load C for beta calc
_buffer_load_d16_b16 v40, v7, s[sgprSrdC:sgprSrdC+3], 0, offen offset:256,  sc0 sc1 // load C for beta calc
_buffer_load_d16_b16 v42, v7, s[sgprSrdC:sgprSrdC+3], 0, offen offset:384,  sc0 sc1 // load C for beta calc
s_lshl_b32  s52, s[sgprStrideC1J], 1               // incToNextRow: Scale by BPE
s_add_u32  s[sgprSrdC+0], s[sgprSrdC+0], s52       // incToNextRow: gra SRD += inc(lower)
s_addc_u32  s[sgprSrdC+1], s[sgprSrdC+1], 0        // incToNextRow: gra SRD += inc(upper)
_buffer_load_d16_b16 v44, v7, s[sgprSrdC:sgprSrdC+3], 0, offen offset:0,  sc0 sc1 // load C for beta calc
_buffer_load_d16_b16 v46, v7, s[sgprSrdC:sgprSrdC+3], 0, offen offset:128,  sc0 sc1 // load C for beta calc
_buffer_load_d16_b16 v48, v7, s[sgprSrdC:sgprSrdC+3], 0, offen offset:256,  sc0 sc1 // load C for beta calc
_buffer_load_d16_b16 v50, v7, s[sgprSrdC:sgprSrdC+3], 0, offen offset:384,  sc0 sc1 // load C for beta calc
s_mul_i32 s52, s[sgprStrideC1J], 10                // scale StrideC *= numRows(5) * bpe
s_add_u32  s[sgprSrdC+0], s[sgprSrdC+0], s52       // incToNextRow: gra SRD += inc(lower)
s_addc_u32  s[sgprSrdC+1], s[sgprSrdC+1], 0        // incToNextRow: gra SRD += inc(upper)
_buffer_load_d16_b16 v52, v7, s[sgprSrdC:sgprSrdC+3], 0, offen offset:0,  sc0 sc1 // load C for beta calc
_buffer_load_d16_b16 v54, v7, s[sgprSrdC:sgprSrdC+3], 0, offen offset:128,  sc0 sc1 // load C for beta calc
_buffer_load_d16_b16 v56, v7, s[sgprSrdC:sgprSrdC+3], 0, offen offset:256,  sc0 sc1 // load C for beta calc
_buffer_load_d16_b16 v58, v7, s[sgprSrdC:sgprSrdC+3], 0, offen offset:384,  sc0 sc1 // load C for beta calc
s_lshl_b32  s52, s[sgprStrideC1J], 1               // incToNextRow: Scale by BPE
s_add_u32  s[sgprSrdC+0], s[sgprSrdC+0], s52       // incToNextRow: gra SRD += inc(lower)
s_addc_u32  s[sgprSrdC+1], s[sgprSrdC+1], 0        // incToNextRow: gra SRD += inc(upper)
_buffer_load_d16_b16 v60, v7, s[sgprSrdC:sgprSrdC+3], 0, offen offset:0,  sc0 sc1 // load C for beta calc
_buffer_load_d16_b16 v62, v7, s[sgprSrdC:sgprSrdC+3], 0, offen offset:128,  sc0 sc1 // load C for beta calc
_buffer_load_d16_b16 v64, v7, s[sgprSrdC:sgprSrdC+3], 0, offen offset:256,  sc0 sc1 // load C for beta calc
_buffer_load_d16_b16 v66, v7, s[sgprSrdC:sgprSrdC+3], 0, offen offset:384,  sc0 sc1 // load C for beta calc
s_lshl_b32  s52, s[sgprStrideC1J], 1               // incToNextRow: Scale by BPE
s_add_u32  s[sgprSrdC+0], s[sgprSrdC+0], s52       // incToNextRow: gra SRD += inc(lower)
s_addc_u32  s[sgprSrdC+1], s[sgprSrdC+1], 0        // incToNextRow: gra SRD += inc(upper)
_buffer_load_d16_b16 v68, v7, s[sgprSrdC:sgprSrdC+3], 0, offen offset:0,  sc0 sc1 // load C for beta calc
_buffer_load_d16_b16 v70, v7, s[sgprSrdC:sgprSrdC+3], 0, offen offset:128,  sc0 sc1 // load C for beta calc
	;; [unrolled: 28-line block ×4, first 2 shown]
_buffer_load_d16_b16 v136, v7, s[sgprSrdC:sgprSrdC+3], 0, offen offset:256,  sc0 sc1 // load C for beta calc
_buffer_load_d16_b16 v138, v7, s[sgprSrdC:sgprSrdC+3], 0, offen offset:384,  sc0 sc1 // load C for beta calc
s_lshl_b32  s52, s[sgprStrideC1J], 1               // incToNextRow: Scale by BPE
s_add_u32  s[sgprSrdC+0], s[sgprSrdC+0], s52       // incToNextRow: gra SRD += inc(lower)
s_addc_u32  s[sgprSrdC+1], s[sgprSrdC+1], 0        // incToNextRow: gra SRD += inc(upper)
_buffer_load_d16_b16 v140, v7, s[sgprSrdC:sgprSrdC+3], 0, offen offset:0,  sc0 sc1 // load C for beta calc
_buffer_load_d16_b16 v142, v7, s[sgprSrdC:sgprSrdC+3], 0, offen offset:128,  sc0 sc1 // load C for beta calc
	;; [unrolled: 1-line block ×4, first 2 shown]
s_sleep 3 // optimization: sync and wait
s_barrier
v_accvgpr_read_b32 v[vgprValuC+9], acc110 // copy acc to vreg[122]
v_accvgpr_read_b32 v[vgprValuC+11], acc126 // copy acc to vreg[123]
v_accvgpr_read_b32 v[vgprValuC+13], acc79 // copy acc to vreg[124]
v_accvgpr_read_b32 v[vgprValuC+15], acc95 // copy acc to vreg[125]
v_accvgpr_read_b32 v[vgprValuC+17], acc111 // copy acc to vreg[126]
v_accvgpr_read_b32 v[vgprValuC+19], acc127 // copy acc to vreg[127]
v_accvgpr_read_b32 v[vgprValuC+21], acc128 // copy acc to vreg[128]
v_accvgpr_read_b32 v[vgprValuC+23], acc144 // copy acc to vreg[129]
v_accvgpr_read_b32 v[vgprValuC+25], acc160 // copy acc to vreg[130]
v_accvgpr_read_b32 v[vgprValuC+27], acc176 // copy acc to vreg[131]
v_accvgpr_read_b32 v[vgprValuC+29], acc129 // copy acc to vreg[132]
v_accvgpr_read_b32 v[vgprValuC+31], acc145 // copy acc to vreg[133]
v_accvgpr_read_b32 v[vgprValuC+33], acc161 // copy acc to vreg[134]
v_accvgpr_read_b32 v[vgprValuC+35], acc177 // copy acc to vreg[135]
v_accvgpr_read_b32 v[vgprValuC+37], acc130 // copy acc to vreg[136]
v_accvgpr_read_b32 v[vgprValuC+39], acc146 // copy acc to vreg[137]
v_accvgpr_read_b32 v[vgprValuC+41], acc162 // copy acc to vreg[138]
v_accvgpr_read_b32 v[vgprValuC+43], acc178 // copy acc to vreg[139]
v_accvgpr_read_b32 v[vgprValuC+45], acc131 // copy acc to vreg[140]
v_accvgpr_read_b32 v[vgprValuC+47], acc147 // copy acc to vreg[141]
v_accvgpr_read_b32 v[vgprValuC+49], acc163 // copy acc to vreg[142]
v_accvgpr_read_b32 v[vgprValuC+51], acc179 // copy acc to vreg[143]
v_accvgpr_read_b32 v[vgprValuC+53], acc132 // copy acc to vreg[144]
v_accvgpr_read_b32 v[vgprValuC+55], acc148 // copy acc to vreg[145]
v_accvgpr_read_b32 v[vgprValuC+57], acc164 // copy acc to vreg[146]
v_accvgpr_read_b32 v[vgprValuC+59], acc180 // copy acc to vreg[147]
v_accvgpr_read_b32 v[vgprValuC+61], acc133 // copy acc to vreg[148]
v_accvgpr_read_b32 v[vgprValuC+63], acc149 // copy acc to vreg[149]
v_accvgpr_read_b32 v[vgprValuC+65], acc165 // copy acc to vreg[150]
v_accvgpr_read_b32 v[vgprValuC+67], acc181 // copy acc to vreg[151]
v_accvgpr_read_b32 v[vgprValuC+69], acc134 // copy acc to vreg[152]
v_accvgpr_read_b32 v[vgprValuC+71], acc150 // copy acc to vreg[153]
v_accvgpr_read_b32 v[vgprValuC+73], acc166 // copy acc to vreg[154]
v_accvgpr_read_b32 v[vgprValuC+75], acc182 // copy acc to vreg[155]
v_accvgpr_read_b32 v[vgprValuC+77], acc135 // copy acc to vreg[156]
v_accvgpr_read_b32 v[vgprValuC+79], acc151 // copy acc to vreg[157]
v_accvgpr_read_b32 v[vgprValuC+81], acc167 // copy acc to vreg[158]
v_accvgpr_read_b32 v[vgprValuC+83], acc183 // copy acc to vreg[159]
v_accvgpr_read_b32 v[vgprValuC+85], acc136 // copy acc to vreg[160]
v_accvgpr_read_b32 v[vgprValuC+87], acc152 // copy acc to vreg[161]
v_accvgpr_read_b32 v[vgprValuC+89], acc168 // copy acc to vreg[162]
v_accvgpr_read_b32 v[vgprValuC+91], acc184 // copy acc to vreg[163]
v_accvgpr_read_b32 v[vgprValuC+93], acc137 // copy acc to vreg[164]
v_accvgpr_read_b32 v[vgprValuC+95], acc153 // copy acc to vreg[165]
v_accvgpr_read_b32 v[vgprValuC+97], acc169 // copy acc to vreg[166]
v_accvgpr_read_b32 v[vgprValuC+99], acc185 // copy acc to vreg[167]
v_accvgpr_read_b32 v[vgprValuC+101], acc138 // copy acc to vreg[168]
v_accvgpr_read_b32 v[vgprValuC+103], acc154 // copy acc to vreg[169]
v_accvgpr_read_b32 v[vgprValuC+105], acc170 // copy acc to vreg[170]
v_accvgpr_read_b32 v[vgprValuC+107], acc186 // copy acc to vreg[171]
v_accvgpr_read_b32 v[vgprValuC+109], acc139 // copy acc to vreg[172]
v_accvgpr_read_b32 v[vgprValuC+111], acc155 // copy acc to vreg[173]
v_accvgpr_read_b32 v[vgprValuC+113], acc171 // copy acc to vreg[174]
v_accvgpr_read_b32 v[vgprValuC+115], acc187 // copy acc to vreg[175]
v_accvgpr_read_b32 v[vgprValuC+117], acc140 // copy acc to vreg[176]
v_accvgpr_read_b32 v[vgprValuC+119], acc156 // copy acc to vreg[177]
v_accvgpr_read_b32 v[vgprValuC+121], acc172 // copy acc to vreg[178]
v_accvgpr_read_b32 v[vgprValuC+123], acc188 // copy acc to vreg[179]
v_accvgpr_read_b32 v[vgprValuC+125], acc141 // copy acc to vreg[180]
v_accvgpr_read_b32 v[vgprValuC+127], acc157 // copy acc to vreg[181]
v_accvgpr_read_b32 v[vgprValuC+129], acc173 // copy acc to vreg[182]
v_accvgpr_read_b32 v[vgprValuC+131], acc189 // copy acc to vreg[183]
v_accvgpr_read_b32 v[vgprValuC+133], acc142 // copy acc to vreg[184]
v_accvgpr_read_b32 v[vgprValuC+135], acc158 // copy acc to vreg[185]
v_accvgpr_read_b32 v[vgprValuC+137], acc174 // copy acc to vreg[186]
v_accvgpr_read_b32 v[vgprValuC+139], acc190 // copy acc to vreg[187]
v_accvgpr_read_b32 v[vgprValuC+141], acc143 // copy acc to vreg[188]
v_accvgpr_read_b32 v[vgprValuC+143], acc159 // copy acc to vreg[189]
v_accvgpr_read_b32 v[vgprValuC+145], acc175 // copy acc to vreg[190]
v_accvgpr_read_b32 v[vgprValuC+147], acc191 // copy acc to vreg[191]
s_nop 1                                            // 2 wait states required before reading vgpr

/* rC *= alpha batchElements=[(7, 2, 2, 0), (7, 3, 2, 0), (7, 0, 3, 0), (7, 1, 3, 0), (7, 2, 3, 0), (7, 3, 3, 0), (8, 0, 0, 0), (8, 1, 0, 0), (8, 2, 0, 0), (8, 3, 0, 0), (8, 0, 1, 0), (8, 1, 1, 0), (8, 2, 1, 0), (8, 3, 1, 0), (8, 0, 2, 0), (8, 1, 2, 0), (8, 2, 2, 0), (8, 3, 2, 0), (8, 0, 3, 0), (8, 1, 3, 0), (8, 2, 3, 0), (8, 3, 3, 0), (9, 0, 0, 0), (9, 1, 0, 0), (9, 2, 0, 0), (9, 3, 0, 0), (9, 0, 1, 0), (9, 1, 1, 0), (9, 2, 1, 0), (9, 3, 1, 0), (9, 0, 2, 0), (9, 1, 2, 0), (9, 2, 2, 0), (9, 3, 2, 0), (9, 0, 3, 0), (9, 1, 3, 0), (9, 2, 3, 0), (9, 3, 3, 0), (10, 0, 0, 0), (10, 1, 0, 0), (10, 2, 0, 0), (10, 3, 0, 0), (10, 0, 1, 0), (10, 1, 1, 0), (10, 2, 1, 0), (10, 3, 1, 0), (10, 0, 2, 0), (10, 1, 2, 0), (10, 2, 2, 0), (10, 3, 2, 0), (10, 0, 3, 0), (10, 1, 3, 0), (10, 2, 3, 0), (10, 3, 3, 0), (11, 0, 0, 0), (11, 1, 0, 0), (11, 2, 0, 0), (11, 3, 0, 0), (11, 0, 1, 0), (11, 1, 1, 0), (11, 2, 1, 0), (11, 3, 1, 0), (11, 0, 2, 0), (11, 1, 2, 0), (11, 2, 2, 0), (11, 3, 2, 0), (11, 0, 3, 0), (11, 1, 3, 0), (11, 2, 3, 0), (11, 3, 3, 0)] */
v_mul_f32 v[vgprValuC+9], s[sgprAlpha], v[vgprValuC+9] // *= alpha
v_mul_f32 v[vgprValuC+11], s[sgprAlpha], v[vgprValuC+11] // *= alpha
	;; [unrolled: 1-line block ×70, first 2 shown]
s_waitcnt vmcnt(0)                                 // wait C

/* apply mask, calc new C and issue writes */
v_fma_mix_f32 v[vgprValuC+9], s[sgprBeta], v8, v[vgprValuC+9], op_sel:[0,0,0] op_sel_hi:[0,1,0] // //C*=beta
v_cvt_f16_f32 v[vgprValuC+9], v[vgprValuC+9]       // convert C to fp16
v_fma_mix_f32 v[vgprValuC+11], s[sgprBeta], v10, v[vgprValuC+11], op_sel:[0,0,0] op_sel_hi:[0,1,0] // //C*=beta
v_cvt_f16_f32 v[vgprValuC+11], v[vgprValuC+11]     // convert C to fp16
v_fma_mix_f32 v[vgprValuC+13], s[sgprBeta], v12, v[vgprValuC+13], op_sel:[0,0,0] op_sel_hi:[0,1,0] // //C*=beta
v_cvt_f16_f32 v[vgprValuC+13], v[vgprValuC+13]     // convert C to fp16
	;; [unrolled: 2-line block ×45, first 2 shown]
v_fma_mix_f32 v[vgprValuC+101], s[sgprBeta], v100, v[vgprValuC+101], op_sel:[0,0,0] op_sel_hi:[0,1,0] // //C*=beta
v_cvt_f16_f32 v[vgprValuC+101], v[vgprValuC+101]   // convert C to fp16
v_fma_mix_f32 v[vgprValuC+103], s[sgprBeta], v102, v[vgprValuC+103], op_sel:[0,0,0] op_sel_hi:[0,1,0] // //C*=beta
v_cvt_f16_f32 v[vgprValuC+103], v[vgprValuC+103]   // convert C to fp16
	;; [unrolled: 2-line block ×24, first 2 shown]
_buffer_store_b16 v9, v6, s[sgprSrdD:sgprSrdD+3], 0, offen, offset:256,  sc0 sc1 // store D
_buffer_store_b16 v11, v6, s[sgprSrdD:sgprSrdD+3], 0, offen, offset:384,  sc0 sc1 // store D
s_lshl_b32  s52, s[sgprStrideD1J], 1               // incToNextRow: Scale by BPE
s_add_u32  s[sgprSrdD+0], s[sgprSrdD+0], s52       // incToNextRow: gra SRD += inc(lower)
s_addc_u32  s[sgprSrdD+1], s[sgprSrdD+1], 0        // incToNextRow: gra SRD += inc(upper)
_buffer_store_b16 v13, v6, s[sgprSrdD:sgprSrdD+3], 0, offen, offset:0,  sc0 sc1 // store D
_buffer_store_b16 v15, v6, s[sgprSrdD:sgprSrdD+3], 0, offen, offset:128,  sc0 sc1 // store D
_buffer_store_b16 v17, v6, s[sgprSrdD:sgprSrdD+3], 0, offen, offset:256,  sc0 sc1 // store D
_buffer_store_b16 v19, v6, s[sgprSrdD:sgprSrdD+3], 0, offen, offset:384,  sc0 sc1 // store D
s_mul_i32 s52, s[sgprStrideD1J], 74                // scale StrideD *= numRows(37) * bpe
s_add_u32  s[sgprSrdD+0], s[sgprSrdD+0], s52       // incToNextRow: gra SRD += inc(lower)
s_addc_u32  s[sgprSrdD+1], s[sgprSrdD+1], 0        // incToNextRow: gra SRD += inc(upper)
_buffer_store_b16 v21, v6, s[sgprSrdD:sgprSrdD+3], 0, offen, offset:0,  sc0 sc1 // store D
_buffer_store_b16 v23, v6, s[sgprSrdD:sgprSrdD+3], 0, offen, offset:128,  sc0 sc1 // store D
_buffer_store_b16 v25, v6, s[sgprSrdD:sgprSrdD+3], 0, offen, offset:256,  sc0 sc1 // store D
_buffer_store_b16 v27, v6, s[sgprSrdD:sgprSrdD+3], 0, offen, offset:384,  sc0 sc1 // store D
s_lshl_b32  s52, s[sgprStrideD1J], 1               // incToNextRow: Scale by BPE
s_add_u32  s[sgprSrdD+0], s[sgprSrdD+0], s52       // incToNextRow: gra SRD += inc(lower)
s_addc_u32  s[sgprSrdD+1], s[sgprSrdD+1], 0        // incToNextRow: gra SRD += inc(upper)
_buffer_store_b16 v29, v6, s[sgprSrdD:sgprSrdD+3], 0, offen, offset:0,  sc0 sc1 // store D
_buffer_store_b16 v31, v6, s[sgprSrdD:sgprSrdD+3], 0, offen, offset:128,  sc0 sc1 // store D
_buffer_store_b16 v33, v6, s[sgprSrdD:sgprSrdD+3], 0, offen, offset:256,  sc0 sc1 // store D
_buffer_store_b16 v35, v6, s[sgprSrdD:sgprSrdD+3], 0, offen, offset:384,  sc0 sc1 // store D
s_lshl_b32  s52, s[sgprStrideD1J], 1               // incToNextRow: Scale by BPE
s_add_u32  s[sgprSrdD+0], s[sgprSrdD+0], s52       // incToNextRow: gra SRD += inc(lower)
s_addc_u32  s[sgprSrdD+1], s[sgprSrdD+1], 0        // incToNextRow: gra SRD += inc(upper)
_buffer_store_b16 v37, v6, s[sgprSrdD:sgprSrdD+3], 0, offen, offset:0,  sc0 sc1 // store D
_buffer_store_b16 v39, v6, s[sgprSrdD:sgprSrdD+3], 0, offen, offset:128,  sc0 sc1 // store D
_buffer_store_b16 v41, v6, s[sgprSrdD:sgprSrdD+3], 0, offen, offset:256,  sc0 sc1 // store D
_buffer_store_b16 v43, v6, s[sgprSrdD:sgprSrdD+3], 0, offen, offset:384,  sc0 sc1 // store D
s_lshl_b32  s52, s[sgprStrideD1J], 1               // incToNextRow: Scale by BPE
s_add_u32  s[sgprSrdD+0], s[sgprSrdD+0], s52       // incToNextRow: gra SRD += inc(lower)
s_addc_u32  s[sgprSrdD+1], s[sgprSrdD+1], 0        // incToNextRow: gra SRD += inc(upper)
_buffer_store_b16 v45, v6, s[sgprSrdD:sgprSrdD+3], 0, offen, offset:0,  sc0 sc1 // store D
_buffer_store_b16 v47, v6, s[sgprSrdD:sgprSrdD+3], 0, offen, offset:128,  sc0 sc1 // store D
_buffer_store_b16 v49, v6, s[sgprSrdD:sgprSrdD+3], 0, offen, offset:256,  sc0 sc1 // store D
_buffer_store_b16 v51, v6, s[sgprSrdD:sgprSrdD+3], 0, offen, offset:384,  sc0 sc1 // store D
s_mul_i32 s52, s[sgprStrideD1J], 10                // scale StrideD *= numRows(5) * bpe
s_add_u32  s[sgprSrdD+0], s[sgprSrdD+0], s52       // incToNextRow: gra SRD += inc(lower)
s_addc_u32  s[sgprSrdD+1], s[sgprSrdD+1], 0        // incToNextRow: gra SRD += inc(upper)
_buffer_store_b16 v53, v6, s[sgprSrdD:sgprSrdD+3], 0, offen, offset:0,  sc0 sc1 // store D
_buffer_store_b16 v55, v6, s[sgprSrdD:sgprSrdD+3], 0, offen, offset:128,  sc0 sc1 // store D
_buffer_store_b16 v57, v6, s[sgprSrdD:sgprSrdD+3], 0, offen, offset:256,  sc0 sc1 // store D
_buffer_store_b16 v59, v6, s[sgprSrdD:sgprSrdD+3], 0, offen, offset:384,  sc0 sc1 // store D
s_lshl_b32  s52, s[sgprStrideD1J], 1               // incToNextRow: Scale by BPE
s_add_u32  s[sgprSrdD+0], s[sgprSrdD+0], s52       // incToNextRow: gra SRD += inc(lower)
s_addc_u32  s[sgprSrdD+1], s[sgprSrdD+1], 0        // incToNextRow: gra SRD += inc(upper)
_buffer_store_b16 v61, v6, s[sgprSrdD:sgprSrdD+3], 0, offen, offset:0,  sc0 sc1 // store D
_buffer_store_b16 v63, v6, s[sgprSrdD:sgprSrdD+3], 0, offen, offset:128,  sc0 sc1 // store D
_buffer_store_b16 v65, v6, s[sgprSrdD:sgprSrdD+3], 0, offen, offset:256,  sc0 sc1 // store D
_buffer_store_b16 v67, v6, s[sgprSrdD:sgprSrdD+3], 0, offen, offset:384,  sc0 sc1 // store D
s_lshl_b32  s52, s[sgprStrideD1J], 1               // incToNextRow: Scale by BPE
s_add_u32  s[sgprSrdD+0], s[sgprSrdD+0], s52       // incToNextRow: gra SRD += inc(lower)
s_addc_u32  s[sgprSrdD+1], s[sgprSrdD+1], 0        // incToNextRow: gra SRD += inc(upper)
_buffer_store_b16 v69, v6, s[sgprSrdD:sgprSrdD+3], 0, offen, offset:0,  sc0 sc1 // store D
_buffer_store_b16 v71, v6, s[sgprSrdD:sgprSrdD+3], 0, offen, offset:128,  sc0 sc1 // store D
	;; [unrolled: 28-line block ×4, first 2 shown]
_buffer_store_b16 v137, v6, s[sgprSrdD:sgprSrdD+3], 0, offen, offset:256,  sc0 sc1 // store D
_buffer_store_b16 v139, v6, s[sgprSrdD:sgprSrdD+3], 0, offen, offset:384,  sc0 sc1 // store D
s_lshl_b32  s52, s[sgprStrideD1J], 1               // incToNextRow: Scale by BPE
s_add_u32  s[sgprSrdD+0], s[sgprSrdD+0], s52       // incToNextRow: gra SRD += inc(lower)
s_addc_u32  s[sgprSrdD+1], s[sgprSrdD+1], 0        // incToNextRow: gra SRD += inc(upper)
_buffer_store_b16 v141, v6, s[sgprSrdD:sgprSrdD+3], 0, offen, offset:0,  sc0 sc1 // store D
_buffer_store_b16 v143, v6, s[sgprSrdD:sgprSrdD+3], 0, offen, offset:128,  sc0 sc1 // store D
	;; [unrolled: 1-line block ×4, first 2 shown]
s_nop 0                                            // 1 wait state required when next inst writes vgprs held by previous dwordx4 store inst
s_branch label_GW_End_42                           // jump to end
GW_B1_E1_41:

/* edge=1, allocate 6 sgpr. perBatchTmpS=4 perBatchMaskS=2 perElementMaskS=0 elementsPerBatch=60 */
/* optSingleColVgpr=0 optSharedColVgpr=0 optSGPRUsage=BufferLoad_Edge_Mask optSrdIncForRow=0 */
s_sleep 3 // optimization: sync and wait
s_barrier

/******************************************/
/* Global Write Alpha Beta Edge Batch #0 (d1,d0,vc1,vc0) = */
/*    (0,0,0,0:vw1); (0,1,0,0:vw1); (0,2,0,0:vw1); (0,3,0,0:vw1); (0,0,1,0:vw1); (0,1,1,0:vw1); (0,2,1,0:vw1); (0,3,1,0:vw1); (0,0,2,0:vw1); (0,1,2,0:vw1); (0,2,2,0:vw1); (0,3,2,0:vw1); (0,0,3,0:vw1); (0,1,3,0:vw1); (0,2,3,0:vw1); (0,3,3,0:vw1); (1,0,0,0:vw1); (1,1,0,0:vw1); (1,2,0,0:vw1); (1,3,0,0:vw1); (1,0,1,0:vw1); (1,1,1,0:vw1); (1,2,1,0:vw1); (1,3,1,0:vw1); (1,0,2,0:vw1); (1,1,2,0:vw1); (1,2,2,0:vw1); (1,3,2,0:vw1); (1,0,3,0:vw1); (1,1,3,0:vw1); (1,2,3,0:vw1); (1,3,3,0:vw1); (2,0,0,0:vw1); (2,1,0,0:vw1); (2,2,0,0:vw1); (2,3,0,0:vw1); (2,0,1,0:vw1); (2,1,1,0:vw1); (2,2,1,0:vw1); (2,3,1,0:vw1); (2,0,2,0:vw1); (2,1,2,0:vw1); (2,2,2,0:vw1); (2,3,2,0:vw1); (2,0,3,0:vw1); (2,1,3,0:vw1); (2,2,3,0:vw1); (2,3,3,0:vw1); (3,0,0,0:vw1); (3,1,0,0:vw1); (3,2,0,0:vw1); (3,3,0,0:vw1); (3,0,1,0:vw1); (3,1,1,0:vw1); (3,2,1,0:vw1); (3,3,1,0:vw1); (3,0,2,0:vw1); (3,1,2,0:vw1); (3,2,2,0:vw1); (3,3,2,0:vw1) */
/******************************************/

/* calc coords, apply mask, and issue loads (if necessary) */
/* (d1,vc1,d0,vc0)=(0,0,0,0) */
v_cmp_lt_u32 s[52:53], v0, s[sgprSizeI]            // coord0 < size0
v_cmp_lt_u32 s[56:57], v1, s[sgprSizeJ]            // coord1 < size1
s_and_b64 s[56:57], s[52:53], s[56:57]             // in0 && in1
_v_add_lshl_u32 v7, v2, v0, 0x1                    // scaleToBpe: accumulate d0 lower and *= bpe into Cin addr
v_cndmask_b32 v7, -1, v7, s[56:57]                 // LDC clip if OOB. offset
_v_add_lshl_u32 v6, v3, v0, 0x1                    // scaleToBpe: accumulate d0 lower and *= bpe into Cin addr
v_cndmask_b32 v6, -1, v6, s[56:57]                 // LDD clip if OOB. offset
/* (d1,vc1,d0,vc0)=(0,0,1,0) */
_v_add_co_u32 v4, vcc, v0, 64                      // coord0.1: coord0 += d0*sg0*VW + vc0
v_cmp_lt_u32 s[52:53], v4, s[sgprSizeI]            // coord0 < size0
v_cmp_lt_u32 s[56:57], v1, s[sgprSizeJ]            // coord1 < size1
s_and_b64 s[56:57], s[52:53], s[56:57]             // in0 && in1
_v_add_lshl_u32 v11, v2, v4, 0x1                   // scaleToBpe: accumulate d0 lower and *= bpe into Cin addr
v_cndmask_b32 v11, -1, v11, s[56:57]               // LDC clip if OOB. offset
_v_add_lshl_u32 v10, v3, v4, 0x1                   // scaleToBpe: accumulate d0 lower and *= bpe into Cin addr
v_cndmask_b32 v10, -1, v10, s[56:57]               // LDD clip if OOB. offset
/* (d1,vc1,d0,vc0)=(0,0,2,0) */
s_mov_b32 s52, 128                                 // coordOffset0 d0=2 vc0=0
_v_add_co_u32 v4, vcc, v0, s52                     // coord0.2: coord0 += d0*sg0*VW + vc0
v_cmp_lt_u32 s[52:53], v4, s[sgprSizeI]            // coord0 < size0
v_cmp_lt_u32 s[56:57], v1, s[sgprSizeJ]            // coord1 < size1
s_and_b64 s[56:57], s[52:53], s[56:57]             // in0 && in1
_v_add_lshl_u32 v15, v2, v4, 0x1                   // scaleToBpe: accumulate d0 lower and *= bpe into Cin addr
v_cndmask_b32 v15, -1, v15, s[56:57]               // LDC clip if OOB. offset
_v_add_lshl_u32 v14, v3, v4, 0x1                   // scaleToBpe: accumulate d0 lower and *= bpe into Cin addr
v_cndmask_b32 v14, -1, v14, s[56:57]               // LDD clip if OOB. offset
/* (d1,vc1,d0,vc0)=(0,0,3,0) */
s_mov_b32 s52, 192                                 // coordOffset0 d0=3 vc0=0
_v_add_co_u32 v4, vcc, v0, s52                     // coord0.2: coord0 += d0*sg0*VW + vc0
v_cmp_lt_u32 s[52:53], v4, s[sgprSizeI]            // coord0 < size0
v_cmp_lt_u32 s[56:57], v1, s[sgprSizeJ]            // coord1 < size1
s_and_b64 s[56:57], s[52:53], s[56:57]             // in0 && in1
_v_add_lshl_u32 v19, v2, v4, 0x1                   // scaleToBpe: accumulate d0 lower and *= bpe into Cin addr
v_cndmask_b32 v19, -1, v19, s[56:57]               // LDC clip if OOB. offset
_v_add_lshl_u32 v18, v3, v4, 0x1                   // scaleToBpe: accumulate d0 lower and *= bpe into Cin addr
v_cndmask_b32 v18, -1, v18, s[56:57]               // LDD clip if OOB. offset
/* (d1,vc1,d0,vc0)=(0,1,0,0) */
_v_add_co_u32 v1, vcc, v1, 1                       // coord1.1: coord1Vgpr += d1*sg1*VW + vc1

/* Fix for UseInitialStridesCD, emitAddressSetupCode */
_v_add_u32 v2, v2, s[sgprStrideC1J]                // ROWINC- Move cinRowPtr to next row
_v_add_u32 v3, v3, s[sgprStrideD1J]                // Move coutRowPtr to next row
v_cmp_lt_u32 s[52:53], v0, s[sgprSizeI]            // coord0 < size0
v_cmp_lt_u32 s[56:57], v1, s[sgprSizeJ]            // coord1 < size1
s_and_b64 s[56:57], s[52:53], s[56:57]             // in0 && in1
_v_add_lshl_u32 v23, v2, v0, 0x1                   // scaleToBpe: accumulate d0 lower and *= bpe into Cin addr
v_cndmask_b32 v23, -1, v23, s[56:57]               // LDC clip if OOB. offset
_v_add_lshl_u32 v22, v3, v0, 0x1                   // scaleToBpe: accumulate d0 lower and *= bpe into Cin addr
v_cndmask_b32 v22, -1, v22, s[56:57]               // LDD clip if OOB. offset
/* (d1,vc1,d0,vc0)=(0,1,1,0) */
_v_add_co_u32 v4, vcc, v0, 64                      // coord0.1: coord0 += d0*sg0*VW + vc0
v_cmp_lt_u32 s[52:53], v4, s[sgprSizeI]            // coord0 < size0
v_cmp_lt_u32 s[56:57], v1, s[sgprSizeJ]            // coord1 < size1
s_and_b64 s[56:57], s[52:53], s[56:57]             // in0 && in1
_v_add_lshl_u32 v27, v2, v4, 0x1                   // scaleToBpe: accumulate d0 lower and *= bpe into Cin addr
v_cndmask_b32 v27, -1, v27, s[56:57]               // LDC clip if OOB. offset
_v_add_lshl_u32 v26, v3, v4, 0x1                   // scaleToBpe: accumulate d0 lower and *= bpe into Cin addr
v_cndmask_b32 v26, -1, v26, s[56:57]               // LDD clip if OOB. offset
/* (d1,vc1,d0,vc0)=(0,1,2,0) */
s_mov_b32 s52, 128                                 // coordOffset0 d0=2 vc0=0
_v_add_co_u32 v4, vcc, v0, s52                     // coord0.2: coord0 += d0*sg0*VW + vc0
v_cmp_lt_u32 s[52:53], v4, s[sgprSizeI]            // coord0 < size0
v_cmp_lt_u32 s[56:57], v1, s[sgprSizeJ]            // coord1 < size1
s_and_b64 s[56:57], s[52:53], s[56:57]             // in0 && in1
_v_add_lshl_u32 v31, v2, v4, 0x1                   // scaleToBpe: accumulate d0 lower and *= bpe into Cin addr
v_cndmask_b32 v31, -1, v31, s[56:57]               // LDC clip if OOB. offset
_v_add_lshl_u32 v30, v3, v4, 0x1                   // scaleToBpe: accumulate d0 lower and *= bpe into Cin addr
v_cndmask_b32 v30, -1, v30, s[56:57]               // LDD clip if OOB. offset
/* (d1,vc1,d0,vc0)=(0,1,3,0) */
s_mov_b32 s52, 192                                 // coordOffset0 d0=3 vc0=0
_v_add_co_u32 v4, vcc, v0, s52                     // coord0.2: coord0 += d0*sg0*VW + vc0
v_cmp_lt_u32 s[52:53], v4, s[sgprSizeI]            // coord0 < size0
v_cmp_lt_u32 s[56:57], v1, s[sgprSizeJ]            // coord1 < size1
s_and_b64 s[56:57], s[52:53], s[56:57]             // in0 && in1
_v_add_lshl_u32 v35, v2, v4, 0x1                   // scaleToBpe: accumulate d0 lower and *= bpe into Cin addr
v_cndmask_b32 v35, -1, v35, s[56:57]               // LDC clip if OOB. offset
_v_add_lshl_u32 v34, v3, v4, 0x1                   // scaleToBpe: accumulate d0 lower and *= bpe into Cin addr
v_cndmask_b32 v34, -1, v34, s[56:57]               // LDD clip if OOB. offset
/* (d1,vc1,d0,vc0)=(0,2,0,0) */
_v_add_co_u32 v1, vcc, v1, 1                       // coord1.1: coord1Vgpr += d1*sg1*VW + vc1

/* Fix for UseInitialStridesCD, emitAddressSetupCode */
_v_add_u32 v2, v2, s[sgprStrideC1J]                // ROWINC- Move cinRowPtr to next row
_v_add_u32 v3, v3, s[sgprStrideD1J]                // Move coutRowPtr to next row
v_cmp_lt_u32 s[52:53], v0, s[sgprSizeI]            // coord0 < size0
v_cmp_lt_u32 s[56:57], v1, s[sgprSizeJ]            // coord1 < size1
s_and_b64 s[56:57], s[52:53], s[56:57]             // in0 && in1
_v_add_lshl_u32 v39, v2, v0, 0x1                   // scaleToBpe: accumulate d0 lower and *= bpe into Cin addr
v_cndmask_b32 v39, -1, v39, s[56:57]               // LDC clip if OOB. offset
_v_add_lshl_u32 v38, v3, v0, 0x1                   // scaleToBpe: accumulate d0 lower and *= bpe into Cin addr
v_cndmask_b32 v38, -1, v38, s[56:57]               // LDD clip if OOB. offset
	;; [unrolled: 42-line block ×3, first 2 shown]
/* (d1,vc1,d0,vc0)=(0,3,1,0) */
_v_add_co_u32 v4, vcc, v0, 64                      // coord0.1: coord0 += d0*sg0*VW + vc0
v_cmp_lt_u32 s[52:53], v4, s[sgprSizeI]            // coord0 < size0
v_cmp_lt_u32 s[56:57], v1, s[sgprSizeJ]            // coord1 < size1
s_and_b64 s[56:57], s[52:53], s[56:57]             // in0 && in1
_v_add_lshl_u32 v59, v2, v4, 0x1                   // scaleToBpe: accumulate d0 lower and *= bpe into Cin addr
v_cndmask_b32 v59, -1, v59, s[56:57]               // LDC clip if OOB. offset
_v_add_lshl_u32 v58, v3, v4, 0x1                   // scaleToBpe: accumulate d0 lower and *= bpe into Cin addr
v_cndmask_b32 v58, -1, v58, s[56:57]               // LDD clip if OOB. offset
/* (d1,vc1,d0,vc0)=(0,3,2,0) */
s_mov_b32 s52, 128                                 // coordOffset0 d0=2 vc0=0
_v_add_co_u32 v4, vcc, v0, s52                     // coord0.2: coord0 += d0*sg0*VW + vc0
v_cmp_lt_u32 s[52:53], v4, s[sgprSizeI]            // coord0 < size0
v_cmp_lt_u32 s[56:57], v1, s[sgprSizeJ]            // coord1 < size1
s_and_b64 s[56:57], s[52:53], s[56:57]             // in0 && in1
_v_add_lshl_u32 v63, v2, v4, 0x1                   // scaleToBpe: accumulate d0 lower and *= bpe into Cin addr
v_cndmask_b32 v63, -1, v63, s[56:57]               // LDC clip if OOB. offset
_v_add_lshl_u32 v62, v3, v4, 0x1                   // scaleToBpe: accumulate d0 lower and *= bpe into Cin addr
v_cndmask_b32 v62, -1, v62, s[56:57]               // LDD clip if OOB. offset
/* (d1,vc1,d0,vc0)=(0,3,3,0) */
s_mov_b32 s52, 192                                 // coordOffset0 d0=3 vc0=0
_v_add_co_u32 v4, vcc, v0, s52                     // coord0.2: coord0 += d0*sg0*VW + vc0
v_cmp_lt_u32 s[52:53], v4, s[sgprSizeI]            // coord0 < size0
v_cmp_lt_u32 s[56:57], v1, s[sgprSizeJ]            // coord1 < size1
s_and_b64 s[56:57], s[52:53], s[56:57]             // in0 && in1
_v_add_lshl_u32 v67, v2, v4, 0x1                   // scaleToBpe: accumulate d0 lower and *= bpe into Cin addr
v_cndmask_b32 v67, -1, v67, s[56:57]               // LDC clip if OOB. offset
_v_add_lshl_u32 v66, v3, v4, 0x1                   // scaleToBpe: accumulate d0 lower and *= bpe into Cin addr
v_cndmask_b32 v66, -1, v66, s[56:57]               // LDD clip if OOB. offset
/* (d1,vc1,d0,vc0)=(1,0,0,0) */
_v_add_co_u32 v1, vcc, v1, 5                       // coord1.1: coord1Vgpr += d1*sg1*VW + vc1

/* Fix for UseInitialStridesCD, emitAddressSetupCode */
s_mul_i32 s52, s[sgprStrideC1J], 5                 // scale stride
_v_add_u32 v2, v2, s52                             // ROWINC- Move cinRowPtr to next row
s_mul_i32 s52, s[sgprStrideD1J], 5                 // scale stride
_v_add_u32 v3, v3, s52                             // Move coutRowPtr to next row
v_cmp_lt_u32 s[52:53], v0, s[sgprSizeI]            // coord0 < size0
v_cmp_lt_u32 s[56:57], v1, s[sgprSizeJ]            // coord1 < size1
s_and_b64 s[56:57], s[52:53], s[56:57]             // in0 && in1
_v_add_lshl_u32 v71, v2, v0, 0x1                   // scaleToBpe: accumulate d0 lower and *= bpe into Cin addr
v_cndmask_b32 v71, -1, v71, s[56:57]               // LDC clip if OOB. offset
_v_add_lshl_u32 v70, v3, v0, 0x1                   // scaleToBpe: accumulate d0 lower and *= bpe into Cin addr
v_cndmask_b32 v70, -1, v70, s[56:57]               // LDD clip if OOB. offset
/* (d1,vc1,d0,vc0)=(1,0,1,0) */
_v_add_co_u32 v4, vcc, v0, 64                      // coord0.1: coord0 += d0*sg0*VW + vc0
v_cmp_lt_u32 s[52:53], v4, s[sgprSizeI]            // coord0 < size0
v_cmp_lt_u32 s[56:57], v1, s[sgprSizeJ]            // coord1 < size1
s_and_b64 s[56:57], s[52:53], s[56:57]             // in0 && in1
_v_add_lshl_u32 v75, v2, v4, 0x1                   // scaleToBpe: accumulate d0 lower and *= bpe into Cin addr
v_cndmask_b32 v75, -1, v75, s[56:57]               // LDC clip if OOB. offset
_v_add_lshl_u32 v74, v3, v4, 0x1                   // scaleToBpe: accumulate d0 lower and *= bpe into Cin addr
v_cndmask_b32 v74, -1, v74, s[56:57]               // LDD clip if OOB. offset
/* (d1,vc1,d0,vc0)=(1,0,2,0) */
s_mov_b32 s52, 128                                 // coordOffset0 d0=2 vc0=0
_v_add_co_u32 v4, vcc, v0, s52                     // coord0.2: coord0 += d0*sg0*VW + vc0
v_cmp_lt_u32 s[52:53], v4, s[sgprSizeI]            // coord0 < size0
v_cmp_lt_u32 s[56:57], v1, s[sgprSizeJ]            // coord1 < size1
s_and_b64 s[56:57], s[52:53], s[56:57]             // in0 && in1
_v_add_lshl_u32 v79, v2, v4, 0x1                   // scaleToBpe: accumulate d0 lower and *= bpe into Cin addr
v_cndmask_b32 v79, -1, v79, s[56:57]               // LDC clip if OOB. offset
_v_add_lshl_u32 v78, v3, v4, 0x1                   // scaleToBpe: accumulate d0 lower and *= bpe into Cin addr
v_cndmask_b32 v78, -1, v78, s[56:57]               // LDD clip if OOB. offset
/* (d1,vc1,d0,vc0)=(1,0,3,0) */
s_mov_b32 s52, 192                                 // coordOffset0 d0=3 vc0=0
_v_add_co_u32 v4, vcc, v0, s52                     // coord0.2: coord0 += d0*sg0*VW + vc0
v_cmp_lt_u32 s[52:53], v4, s[sgprSizeI]            // coord0 < size0
v_cmp_lt_u32 s[56:57], v1, s[sgprSizeJ]            // coord1 < size1
s_and_b64 s[56:57], s[52:53], s[56:57]             // in0 && in1
_v_add_lshl_u32 v83, v2, v4, 0x1                   // scaleToBpe: accumulate d0 lower and *= bpe into Cin addr
v_cndmask_b32 v83, -1, v83, s[56:57]               // LDC clip if OOB. offset
_v_add_lshl_u32 v82, v3, v4, 0x1                   // scaleToBpe: accumulate d0 lower and *= bpe into Cin addr
v_cndmask_b32 v82, -1, v82, s[56:57]               // LDD clip if OOB. offset
/* (d1,vc1,d0,vc0)=(1,1,0,0) */
_v_add_co_u32 v1, vcc, v1, 1                       // coord1.1: coord1Vgpr += d1*sg1*VW + vc1

/* Fix for UseInitialStridesCD, emitAddressSetupCode */
_v_add_u32 v2, v2, s[sgprStrideC1J]                // ROWINC- Move cinRowPtr to next row
_v_add_u32 v3, v3, s[sgprStrideD1J]                // Move coutRowPtr to next row
v_cmp_lt_u32 s[52:53], v0, s[sgprSizeI]            // coord0 < size0
v_cmp_lt_u32 s[56:57], v1, s[sgprSizeJ]            // coord1 < size1
s_and_b64 s[56:57], s[52:53], s[56:57]             // in0 && in1
_v_add_lshl_u32 v87, v2, v0, 0x1                   // scaleToBpe: accumulate d0 lower and *= bpe into Cin addr
v_cndmask_b32 v87, -1, v87, s[56:57]               // LDC clip if OOB. offset
_v_add_lshl_u32 v86, v3, v0, 0x1                   // scaleToBpe: accumulate d0 lower and *= bpe into Cin addr
v_cndmask_b32 v86, -1, v86, s[56:57]               // LDD clip if OOB. offset
/* (d1,vc1,d0,vc0)=(1,1,1,0) */
_v_add_co_u32 v4, vcc, v0, 64                      // coord0.1: coord0 += d0*sg0*VW + vc0
v_cmp_lt_u32 s[52:53], v4, s[sgprSizeI]            // coord0 < size0
v_cmp_lt_u32 s[56:57], v1, s[sgprSizeJ]            // coord1 < size1
s_and_b64 s[56:57], s[52:53], s[56:57]             // in0 && in1
_v_add_lshl_u32 v91, v2, v4, 0x1                   // scaleToBpe: accumulate d0 lower and *= bpe into Cin addr
v_cndmask_b32 v91, -1, v91, s[56:57]               // LDC clip if OOB. offset
_v_add_lshl_u32 v90, v3, v4, 0x1                   // scaleToBpe: accumulate d0 lower and *= bpe into Cin addr
v_cndmask_b32 v90, -1, v90, s[56:57]               // LDD clip if OOB. offset
/* (d1,vc1,d0,vc0)=(1,1,2,0) */
s_mov_b32 s52, 128                                 // coordOffset0 d0=2 vc0=0
_v_add_co_u32 v4, vcc, v0, s52                     // coord0.2: coord0 += d0*sg0*VW + vc0
v_cmp_lt_u32 s[52:53], v4, s[sgprSizeI]            // coord0 < size0
v_cmp_lt_u32 s[56:57], v1, s[sgprSizeJ]            // coord1 < size1
s_and_b64 s[56:57], s[52:53], s[56:57]             // in0 && in1
_v_add_lshl_u32 v95, v2, v4, 0x1                   // scaleToBpe: accumulate d0 lower and *= bpe into Cin addr
v_cndmask_b32 v95, -1, v95, s[56:57]               // LDC clip if OOB. offset
_v_add_lshl_u32 v94, v3, v4, 0x1                   // scaleToBpe: accumulate d0 lower and *= bpe into Cin addr
v_cndmask_b32 v94, -1, v94, s[56:57]               // LDD clip if OOB. offset
/* (d1,vc1,d0,vc0)=(1,1,3,0) */
s_mov_b32 s52, 192                                 // coordOffset0 d0=3 vc0=0
_v_add_co_u32 v4, vcc, v0, s52                     // coord0.2: coord0 += d0*sg0*VW + vc0
v_cmp_lt_u32 s[52:53], v4, s[sgprSizeI]            // coord0 < size0
v_cmp_lt_u32 s[56:57], v1, s[sgprSizeJ]            // coord1 < size1
s_and_b64 s[56:57], s[52:53], s[56:57]             // in0 && in1
_v_add_lshl_u32 v99, v2, v4, 0x1                   // scaleToBpe: accumulate d0 lower and *= bpe into Cin addr
v_cndmask_b32 v99, -1, v99, s[56:57]               // LDC clip if OOB. offset
_v_add_lshl_u32 v98, v3, v4, 0x1                   // scaleToBpe: accumulate d0 lower and *= bpe into Cin addr
v_cndmask_b32 v98, -1, v98, s[56:57]               // LDD clip if OOB. offset
/* (d1,vc1,d0,vc0)=(1,2,0,0) */
_v_add_co_u32 v1, vcc, v1, 1                       // coord1.1: coord1Vgpr += d1*sg1*VW + vc1

/* Fix for UseInitialStridesCD, emitAddressSetupCode */
_v_add_u32 v2, v2, s[sgprStrideC1J]                // ROWINC- Move cinRowPtr to next row
_v_add_u32 v3, v3, s[sgprStrideD1J]                // Move coutRowPtr to next row
v_cmp_lt_u32 s[52:53], v0, s[sgprSizeI]            // coord0 < size0
v_cmp_lt_u32 s[56:57], v1, s[sgprSizeJ]            // coord1 < size1
s_and_b64 s[56:57], s[52:53], s[56:57]             // in0 && in1
_v_add_lshl_u32 v103, v2, v0, 0x1                  // scaleToBpe: accumulate d0 lower and *= bpe into Cin addr
v_cndmask_b32 v103, -1, v103, s[56:57]             // LDC clip if OOB. offset
_v_add_lshl_u32 v102, v3, v0, 0x1                  // scaleToBpe: accumulate d0 lower and *= bpe into Cin addr
v_cndmask_b32 v102, -1, v102, s[56:57]             // LDD clip if OOB. offset
/* (d1,vc1,d0,vc0)=(1,2,1,0) */
_v_add_co_u32 v4, vcc, v0, 64                      // coord0.1: coord0 += d0*sg0*VW + vc0
v_cmp_lt_u32 s[52:53], v4, s[sgprSizeI]            // coord0 < size0
v_cmp_lt_u32 s[56:57], v1, s[sgprSizeJ]            // coord1 < size1
s_and_b64 s[56:57], s[52:53], s[56:57]             // in0 && in1
_v_add_lshl_u32 v107, v2, v4, 0x1                  // scaleToBpe: accumulate d0 lower and *= bpe into Cin addr
v_cndmask_b32 v107, -1, v107, s[56:57]             // LDC clip if OOB. offset
_v_add_lshl_u32 v106, v3, v4, 0x1                  // scaleToBpe: accumulate d0 lower and *= bpe into Cin addr
v_cndmask_b32 v106, -1, v106, s[56:57]             // LDD clip if OOB. offset
/* (d1,vc1,d0,vc0)=(1,2,2,0) */
s_mov_b32 s52, 128                                 // coordOffset0 d0=2 vc0=0
_v_add_co_u32 v4, vcc, v0, s52                     // coord0.2: coord0 += d0*sg0*VW + vc0
v_cmp_lt_u32 s[52:53], v4, s[sgprSizeI]            // coord0 < size0
v_cmp_lt_u32 s[56:57], v1, s[sgprSizeJ]            // coord1 < size1
s_and_b64 s[56:57], s[52:53], s[56:57]             // in0 && in1
_v_add_lshl_u32 v111, v2, v4, 0x1                  // scaleToBpe: accumulate d0 lower and *= bpe into Cin addr
v_cndmask_b32 v111, -1, v111, s[56:57]             // LDC clip if OOB. offset
_v_add_lshl_u32 v110, v3, v4, 0x1                  // scaleToBpe: accumulate d0 lower and *= bpe into Cin addr
v_cndmask_b32 v110, -1, v110, s[56:57]             // LDD clip if OOB. offset
/* (d1,vc1,d0,vc0)=(1,2,3,0) */
s_mov_b32 s52, 192                                 // coordOffset0 d0=3 vc0=0
_v_add_co_u32 v4, vcc, v0, s52                     // coord0.2: coord0 += d0*sg0*VW + vc0
v_cmp_lt_u32 s[52:53], v4, s[sgprSizeI]            // coord0 < size0
v_cmp_lt_u32 s[56:57], v1, s[sgprSizeJ]            // coord1 < size1
s_and_b64 s[56:57], s[52:53], s[56:57]             // in0 && in1
_v_add_lshl_u32 v115, v2, v4, 0x1                  // scaleToBpe: accumulate d0 lower and *= bpe into Cin addr
v_cndmask_b32 v115, -1, v115, s[56:57]             // LDC clip if OOB. offset
_v_add_lshl_u32 v114, v3, v4, 0x1                  // scaleToBpe: accumulate d0 lower and *= bpe into Cin addr
v_cndmask_b32 v114, -1, v114, s[56:57]             // LDD clip if OOB. offset
/* (d1,vc1,d0,vc0)=(1,3,0,0) */
_v_add_co_u32 v1, vcc, v1, 1                       // coord1.1: coord1Vgpr += d1*sg1*VW + vc1

/* Fix for UseInitialStridesCD, emitAddressSetupCode */
_v_add_u32 v2, v2, s[sgprStrideC1J]                // ROWINC- Move cinRowPtr to next row
_v_add_u32 v3, v3, s[sgprStrideD1J]                // Move coutRowPtr to next row
v_cmp_lt_u32 s[52:53], v0, s[sgprSizeI]            // coord0 < size0
v_cmp_lt_u32 s[56:57], v1, s[sgprSizeJ]            // coord1 < size1
s_and_b64 s[56:57], s[52:53], s[56:57]             // in0 && in1
_v_add_lshl_u32 v119, v2, v0, 0x1                  // scaleToBpe: accumulate d0 lower and *= bpe into Cin addr
v_cndmask_b32 v119, -1, v119, s[56:57]             // LDC clip if OOB. offset
_v_add_lshl_u32 v118, v3, v0, 0x1                  // scaleToBpe: accumulate d0 lower and *= bpe into Cin addr
v_cndmask_b32 v118, -1, v118, s[56:57]             // LDD clip if OOB. offset
/* (d1,vc1,d0,vc0)=(1,3,1,0) */
_v_add_co_u32 v4, vcc, v0, 64                      // coord0.1: coord0 += d0*sg0*VW + vc0
v_cmp_lt_u32 s[52:53], v4, s[sgprSizeI]            // coord0 < size0
v_cmp_lt_u32 s[56:57], v1, s[sgprSizeJ]            // coord1 < size1
s_and_b64 s[56:57], s[52:53], s[56:57]             // in0 && in1
_v_add_lshl_u32 v123, v2, v4, 0x1                  // scaleToBpe: accumulate d0 lower and *= bpe into Cin addr
v_cndmask_b32 v123, -1, v123, s[56:57]             // LDC clip if OOB. offset
_v_add_lshl_u32 v122, v3, v4, 0x1                  // scaleToBpe: accumulate d0 lower and *= bpe into Cin addr
v_cndmask_b32 v122, -1, v122, s[56:57]             // LDD clip if OOB. offset
/* (d1,vc1,d0,vc0)=(1,3,2,0) */
s_mov_b32 s52, 128                                 // coordOffset0 d0=2 vc0=0
_v_add_co_u32 v4, vcc, v0, s52                     // coord0.2: coord0 += d0*sg0*VW + vc0
v_cmp_lt_u32 s[52:53], v4, s[sgprSizeI]            // coord0 < size0
v_cmp_lt_u32 s[56:57], v1, s[sgprSizeJ]            // coord1 < size1
s_and_b64 s[56:57], s[52:53], s[56:57]             // in0 && in1
_v_add_lshl_u32 v127, v2, v4, 0x1                  // scaleToBpe: accumulate d0 lower and *= bpe into Cin addr
v_cndmask_b32 v127, -1, v127, s[56:57]             // LDC clip if OOB. offset
_v_add_lshl_u32 v126, v3, v4, 0x1                  // scaleToBpe: accumulate d0 lower and *= bpe into Cin addr
v_cndmask_b32 v126, -1, v126, s[56:57]             // LDD clip if OOB. offset
/* (d1,vc1,d0,vc0)=(1,3,3,0) */
s_mov_b32 s52, 192                                 // coordOffset0 d0=3 vc0=0
_v_add_co_u32 v4, vcc, v0, s52                     // coord0.2: coord0 += d0*sg0*VW + vc0
v_cmp_lt_u32 s[52:53], v4, s[sgprSizeI]            // coord0 < size0
v_cmp_lt_u32 s[56:57], v1, s[sgprSizeJ]            // coord1 < size1
s_and_b64 s[56:57], s[52:53], s[56:57]             // in0 && in1
_v_add_lshl_u32 v131, v2, v4, 0x1                  // scaleToBpe: accumulate d0 lower and *= bpe into Cin addr
v_cndmask_b32 v131, -1, v131, s[56:57]             // LDC clip if OOB. offset
_v_add_lshl_u32 v130, v3, v4, 0x1                  // scaleToBpe: accumulate d0 lower and *= bpe into Cin addr
v_cndmask_b32 v130, -1, v130, s[56:57]             // LDD clip if OOB. offset
/* (d1,vc1,d0,vc0)=(2,0,0,0) */
_v_add_co_u32 v1, vcc, v1, 5                       // coord1.1: coord1Vgpr += d1*sg1*VW + vc1

/* Fix for UseInitialStridesCD, emitAddressSetupCode */
s_mul_i32 s52, s[sgprStrideC1J], 5                 // scale stride
_v_add_u32 v2, v2, s52                             // ROWINC- Move cinRowPtr to next row
s_mul_i32 s52, s[sgprStrideD1J], 5                 // scale stride
_v_add_u32 v3, v3, s52                             // Move coutRowPtr to next row
v_cmp_lt_u32 s[52:53], v0, s[sgprSizeI]            // coord0 < size0
v_cmp_lt_u32 s[56:57], v1, s[sgprSizeJ]            // coord1 < size1
s_and_b64 s[56:57], s[52:53], s[56:57]             // in0 && in1
_v_add_lshl_u32 v135, v2, v0, 0x1                  // scaleToBpe: accumulate d0 lower and *= bpe into Cin addr
v_cndmask_b32 v135, -1, v135, s[56:57]             // LDC clip if OOB. offset
_v_add_lshl_u32 v134, v3, v0, 0x1                  // scaleToBpe: accumulate d0 lower and *= bpe into Cin addr
v_cndmask_b32 v134, -1, v134, s[56:57]             // LDD clip if OOB. offset
/* (d1,vc1,d0,vc0)=(2,0,1,0) */
_v_add_co_u32 v4, vcc, v0, 64                      // coord0.1: coord0 += d0*sg0*VW + vc0
v_cmp_lt_u32 s[52:53], v4, s[sgprSizeI]            // coord0 < size0
v_cmp_lt_u32 s[56:57], v1, s[sgprSizeJ]            // coord1 < size1
s_and_b64 s[56:57], s[52:53], s[56:57]             // in0 && in1
_v_add_lshl_u32 v139, v2, v4, 0x1                  // scaleToBpe: accumulate d0 lower and *= bpe into Cin addr
v_cndmask_b32 v139, -1, v139, s[56:57]             // LDC clip if OOB. offset
_v_add_lshl_u32 v138, v3, v4, 0x1                  // scaleToBpe: accumulate d0 lower and *= bpe into Cin addr
v_cndmask_b32 v138, -1, v138, s[56:57]             // LDD clip if OOB. offset
/* (d1,vc1,d0,vc0)=(2,0,2,0) */
s_mov_b32 s52, 128                                 // coordOffset0 d0=2 vc0=0
_v_add_co_u32 v4, vcc, v0, s52                     // coord0.2: coord0 += d0*sg0*VW + vc0
v_cmp_lt_u32 s[52:53], v4, s[sgprSizeI]            // coord0 < size0
v_cmp_lt_u32 s[56:57], v1, s[sgprSizeJ]            // coord1 < size1
s_and_b64 s[56:57], s[52:53], s[56:57]             // in0 && in1
_v_add_lshl_u32 v143, v2, v4, 0x1                  // scaleToBpe: accumulate d0 lower and *= bpe into Cin addr
v_cndmask_b32 v143, -1, v143, s[56:57]             // LDC clip if OOB. offset
_v_add_lshl_u32 v142, v3, v4, 0x1                  // scaleToBpe: accumulate d0 lower and *= bpe into Cin addr
v_cndmask_b32 v142, -1, v142, s[56:57]             // LDD clip if OOB. offset
/* (d1,vc1,d0,vc0)=(2,0,3,0) */
s_mov_b32 s52, 192                                 // coordOffset0 d0=3 vc0=0
_v_add_co_u32 v4, vcc, v0, s52                     // coord0.2: coord0 += d0*sg0*VW + vc0
v_cmp_lt_u32 s[52:53], v4, s[sgprSizeI]            // coord0 < size0
v_cmp_lt_u32 s[56:57], v1, s[sgprSizeJ]            // coord1 < size1
s_and_b64 s[56:57], s[52:53], s[56:57]             // in0 && in1
_v_add_lshl_u32 v147, v2, v4, 0x1                  // scaleToBpe: accumulate d0 lower and *= bpe into Cin addr
v_cndmask_b32 v147, -1, v147, s[56:57]             // LDC clip if OOB. offset
_v_add_lshl_u32 v146, v3, v4, 0x1                  // scaleToBpe: accumulate d0 lower and *= bpe into Cin addr
v_cndmask_b32 v146, -1, v146, s[56:57]             // LDD clip if OOB. offset
/* (d1,vc1,d0,vc0)=(2,1,0,0) */
_v_add_co_u32 v1, vcc, v1, 1                       // coord1.1: coord1Vgpr += d1*sg1*VW + vc1

/* Fix for UseInitialStridesCD, emitAddressSetupCode */
_v_add_u32 v2, v2, s[sgprStrideC1J]                // ROWINC- Move cinRowPtr to next row
_v_add_u32 v3, v3, s[sgprStrideD1J]                // Move coutRowPtr to next row
v_cmp_lt_u32 s[52:53], v0, s[sgprSizeI]            // coord0 < size0
v_cmp_lt_u32 s[56:57], v1, s[sgprSizeJ]            // coord1 < size1
s_and_b64 s[56:57], s[52:53], s[56:57]             // in0 && in1
_v_add_lshl_u32 v151, v2, v0, 0x1                  // scaleToBpe: accumulate d0 lower and *= bpe into Cin addr
v_cndmask_b32 v151, -1, v151, s[56:57]             // LDC clip if OOB. offset
_v_add_lshl_u32 v150, v3, v0, 0x1                  // scaleToBpe: accumulate d0 lower and *= bpe into Cin addr
v_cndmask_b32 v150, -1, v150, s[56:57]             // LDD clip if OOB. offset
/* (d1,vc1,d0,vc0)=(2,1,1,0) */
_v_add_co_u32 v4, vcc, v0, 64                      // coord0.1: coord0 += d0*sg0*VW + vc0
v_cmp_lt_u32 s[52:53], v4, s[sgprSizeI]            // coord0 < size0
v_cmp_lt_u32 s[56:57], v1, s[sgprSizeJ]            // coord1 < size1
s_and_b64 s[56:57], s[52:53], s[56:57]             // in0 && in1
_v_add_lshl_u32 v155, v2, v4, 0x1                  // scaleToBpe: accumulate d0 lower and *= bpe into Cin addr
v_cndmask_b32 v155, -1, v155, s[56:57]             // LDC clip if OOB. offset
_v_add_lshl_u32 v154, v3, v4, 0x1                  // scaleToBpe: accumulate d0 lower and *= bpe into Cin addr
v_cndmask_b32 v154, -1, v154, s[56:57]             // LDD clip if OOB. offset
/* (d1,vc1,d0,vc0)=(2,1,2,0) */
s_mov_b32 s52, 128                                 // coordOffset0 d0=2 vc0=0
_v_add_co_u32 v4, vcc, v0, s52                     // coord0.2: coord0 += d0*sg0*VW + vc0
v_cmp_lt_u32 s[52:53], v4, s[sgprSizeI]            // coord0 < size0
v_cmp_lt_u32 s[56:57], v1, s[sgprSizeJ]            // coord1 < size1
s_and_b64 s[56:57], s[52:53], s[56:57]             // in0 && in1
_v_add_lshl_u32 v159, v2, v4, 0x1                  // scaleToBpe: accumulate d0 lower and *= bpe into Cin addr
v_cndmask_b32 v159, -1, v159, s[56:57]             // LDC clip if OOB. offset
_v_add_lshl_u32 v158, v3, v4, 0x1                  // scaleToBpe: accumulate d0 lower and *= bpe into Cin addr
v_cndmask_b32 v158, -1, v158, s[56:57]             // LDD clip if OOB. offset
/* (d1,vc1,d0,vc0)=(2,1,3,0) */
s_mov_b32 s52, 192                                 // coordOffset0 d0=3 vc0=0
_v_add_co_u32 v4, vcc, v0, s52                     // coord0.2: coord0 += d0*sg0*VW + vc0
v_cmp_lt_u32 s[52:53], v4, s[sgprSizeI]            // coord0 < size0
v_cmp_lt_u32 s[56:57], v1, s[sgprSizeJ]            // coord1 < size1
s_and_b64 s[56:57], s[52:53], s[56:57]             // in0 && in1
_v_add_lshl_u32 v163, v2, v4, 0x1                  // scaleToBpe: accumulate d0 lower and *= bpe into Cin addr
v_cndmask_b32 v163, -1, v163, s[56:57]             // LDC clip if OOB. offset
_v_add_lshl_u32 v162, v3, v4, 0x1                  // scaleToBpe: accumulate d0 lower and *= bpe into Cin addr
v_cndmask_b32 v162, -1, v162, s[56:57]             // LDD clip if OOB. offset
/* (d1,vc1,d0,vc0)=(2,2,0,0) */
_v_add_co_u32 v1, vcc, v1, 1                       // coord1.1: coord1Vgpr += d1*sg1*VW + vc1

/* Fix for UseInitialStridesCD, emitAddressSetupCode */
_v_add_u32 v2, v2, s[sgprStrideC1J]                // ROWINC- Move cinRowPtr to next row
_v_add_u32 v3, v3, s[sgprStrideD1J]                // Move coutRowPtr to next row
	;; [unrolled: 42-line block ×3, first 2 shown]
v_cmp_lt_u32 s[52:53], v0, s[sgprSizeI]            // coord0 < size0
v_cmp_lt_u32 s[56:57], v1, s[sgprSizeJ]            // coord1 < size1
s_and_b64 s[56:57], s[52:53], s[56:57]             // in0 && in1
_v_add_lshl_u32 v186, v2, v0, 0x1                  // scaleToBpe: accumulate d0 lower and *= bpe into Cin addr
v_cndmask_b32 v186, -1, v186, s[56:57]             // LDC clip if OOB. offset
_v_add_lshl_u32 v185, v3, v0, 0x1                  // scaleToBpe: accumulate d0 lower and *= bpe into Cin addr
v_cndmask_b32 v185, -1, v185, s[56:57]             // LDD clip if OOB. offset
/* (d1,vc1,d0,vc0)=(2,3,1,0) */
_v_add_co_u32 v4, vcc, v0, 64                      // coord0.1: coord0 += d0*sg0*VW + vc0
v_cmp_lt_u32 s[52:53], v4, s[sgprSizeI]            // coord0 < size0
v_cmp_lt_u32 s[56:57], v1, s[sgprSizeJ]            // coord1 < size1
s_and_b64 s[56:57], s[52:53], s[56:57]             // in0 && in1
_v_add_lshl_u32 v190, v2, v4, 0x1                  // scaleToBpe: accumulate d0 lower and *= bpe into Cin addr
v_cndmask_b32 v190, -1, v190, s[56:57]             // LDC clip if OOB. offset
_v_add_lshl_u32 v189, v3, v4, 0x1                  // scaleToBpe: accumulate d0 lower and *= bpe into Cin addr
v_cndmask_b32 v189, -1, v189, s[56:57]             // LDD clip if OOB. offset
/* (d1,vc1,d0,vc0)=(2,3,2,0) */
s_mov_b32 s52, 128                                 // coordOffset0 d0=2 vc0=0
_v_add_co_u32 v4, vcc, v0, s52                     // coord0.2: coord0 += d0*sg0*VW + vc0
v_cmp_lt_u32 s[52:53], v4, s[sgprSizeI]            // coord0 < size0
v_cmp_lt_u32 s[56:57], v1, s[sgprSizeJ]            // coord1 < size1
s_and_b64 s[56:57], s[52:53], s[56:57]             // in0 && in1
_v_add_lshl_u32 v194, v2, v4, 0x1                  // scaleToBpe: accumulate d0 lower and *= bpe into Cin addr
v_cndmask_b32 v194, -1, v194, s[56:57]             // LDC clip if OOB. offset
_v_add_lshl_u32 v193, v3, v4, 0x1                  // scaleToBpe: accumulate d0 lower and *= bpe into Cin addr
v_cndmask_b32 v193, -1, v193, s[56:57]             // LDD clip if OOB. offset
/* (d1,vc1,d0,vc0)=(2,3,3,0) */
s_mov_b32 s52, 192                                 // coordOffset0 d0=3 vc0=0
_v_add_co_u32 v4, vcc, v0, s52                     // coord0.2: coord0 += d0*sg0*VW + vc0
v_cmp_lt_u32 s[52:53], v4, s[sgprSizeI]            // coord0 < size0
v_cmp_lt_u32 s[56:57], v1, s[sgprSizeJ]            // coord1 < size1
s_and_b64 s[56:57], s[52:53], s[56:57]             // in0 && in1
_v_add_lshl_u32 v198, v2, v4, 0x1                  // scaleToBpe: accumulate d0 lower and *= bpe into Cin addr
v_cndmask_b32 v198, -1, v198, s[56:57]             // LDC clip if OOB. offset
_v_add_lshl_u32 v197, v3, v4, 0x1                  // scaleToBpe: accumulate d0 lower and *= bpe into Cin addr
v_cndmask_b32 v197, -1, v197, s[56:57]             // LDD clip if OOB. offset
/* (d1,vc1,d0,vc0)=(3,0,0,0) */
_v_add_co_u32 v1, vcc, v1, 5                       // coord1.1: coord1Vgpr += d1*sg1*VW + vc1

/* Fix for UseInitialStridesCD, emitAddressSetupCode */
s_mul_i32 s52, s[sgprStrideC1J], 5                 // scale stride
_v_add_u32 v2, v2, s52                             // ROWINC- Move cinRowPtr to next row
s_mul_i32 s52, s[sgprStrideD1J], 5                 // scale stride
_v_add_u32 v3, v3, s52                             // Move coutRowPtr to next row
v_cmp_lt_u32 s[52:53], v0, s[sgprSizeI]            // coord0 < size0
v_cmp_lt_u32 s[56:57], v1, s[sgprSizeJ]            // coord1 < size1
s_and_b64 s[56:57], s[52:53], s[56:57]             // in0 && in1
_v_add_lshl_u32 v202, v2, v0, 0x1                  // scaleToBpe: accumulate d0 lower and *= bpe into Cin addr
v_cndmask_b32 v202, -1, v202, s[56:57]             // LDC clip if OOB. offset
_v_add_lshl_u32 v201, v3, v0, 0x1                  // scaleToBpe: accumulate d0 lower and *= bpe into Cin addr
v_cndmask_b32 v201, -1, v201, s[56:57]             // LDD clip if OOB. offset
/* (d1,vc1,d0,vc0)=(3,0,1,0) */
_v_add_co_u32 v4, vcc, v0, 64                      // coord0.1: coord0 += d0*sg0*VW + vc0
v_cmp_lt_u32 s[52:53], v4, s[sgprSizeI]            // coord0 < size0
v_cmp_lt_u32 s[56:57], v1, s[sgprSizeJ]            // coord1 < size1
s_and_b64 s[56:57], s[52:53], s[56:57]             // in0 && in1
_v_add_lshl_u32 v206, v2, v4, 0x1                  // scaleToBpe: accumulate d0 lower and *= bpe into Cin addr
v_cndmask_b32 v206, -1, v206, s[56:57]             // LDC clip if OOB. offset
_v_add_lshl_u32 v205, v3, v4, 0x1                  // scaleToBpe: accumulate d0 lower and *= bpe into Cin addr
v_cndmask_b32 v205, -1, v205, s[56:57]             // LDD clip if OOB. offset
/* (d1,vc1,d0,vc0)=(3,0,2,0) */
s_mov_b32 s52, 128                                 // coordOffset0 d0=2 vc0=0
_v_add_co_u32 v4, vcc, v0, s52                     // coord0.2: coord0 += d0*sg0*VW + vc0
v_cmp_lt_u32 s[52:53], v4, s[sgprSizeI]            // coord0 < size0
v_cmp_lt_u32 s[56:57], v1, s[sgprSizeJ]            // coord1 < size1
s_and_b64 s[56:57], s[52:53], s[56:57]             // in0 && in1
_v_add_lshl_u32 v210, v2, v4, 0x1                  // scaleToBpe: accumulate d0 lower and *= bpe into Cin addr
v_cndmask_b32 v210, -1, v210, s[56:57]             // LDC clip if OOB. offset
_v_add_lshl_u32 v209, v3, v4, 0x1                  // scaleToBpe: accumulate d0 lower and *= bpe into Cin addr
v_cndmask_b32 v209, -1, v209, s[56:57]             // LDD clip if OOB. offset
/* (d1,vc1,d0,vc0)=(3,0,3,0) */
s_mov_b32 s52, 192                                 // coordOffset0 d0=3 vc0=0
_v_add_co_u32 v4, vcc, v0, s52                     // coord0.2: coord0 += d0*sg0*VW + vc0
v_cmp_lt_u32 s[52:53], v4, s[sgprSizeI]            // coord0 < size0
v_cmp_lt_u32 s[56:57], v1, s[sgprSizeJ]            // coord1 < size1
s_and_b64 s[56:57], s[52:53], s[56:57]             // in0 && in1
_v_add_lshl_u32 v214, v2, v4, 0x1                  // scaleToBpe: accumulate d0 lower and *= bpe into Cin addr
v_cndmask_b32 v214, -1, v214, s[56:57]             // LDC clip if OOB. offset
_v_add_lshl_u32 v213, v3, v4, 0x1                  // scaleToBpe: accumulate d0 lower and *= bpe into Cin addr
v_cndmask_b32 v213, -1, v213, s[56:57]             // LDD clip if OOB. offset
/* (d1,vc1,d0,vc0)=(3,1,0,0) */
_v_add_co_u32 v1, vcc, v1, 1                       // coord1.1: coord1Vgpr += d1*sg1*VW + vc1

/* Fix for UseInitialStridesCD, emitAddressSetupCode */
_v_add_u32 v2, v2, s[sgprStrideC1J]                // ROWINC- Move cinRowPtr to next row
_v_add_u32 v3, v3, s[sgprStrideD1J]                // Move coutRowPtr to next row
v_cmp_lt_u32 s[52:53], v0, s[sgprSizeI]            // coord0 < size0
v_cmp_lt_u32 s[56:57], v1, s[sgprSizeJ]            // coord1 < size1
s_and_b64 s[56:57], s[52:53], s[56:57]             // in0 && in1
_v_add_lshl_u32 v218, v2, v0, 0x1                  // scaleToBpe: accumulate d0 lower and *= bpe into Cin addr
v_cndmask_b32 v218, -1, v218, s[56:57]             // LDC clip if OOB. offset
_v_add_lshl_u32 v217, v3, v0, 0x1                  // scaleToBpe: accumulate d0 lower and *= bpe into Cin addr
v_cndmask_b32 v217, -1, v217, s[56:57]             // LDD clip if OOB. offset
/* (d1,vc1,d0,vc0)=(3,1,1,0) */
_v_add_co_u32 v4, vcc, v0, 64                      // coord0.1: coord0 += d0*sg0*VW + vc0
v_cmp_lt_u32 s[52:53], v4, s[sgprSizeI]            // coord0 < size0
v_cmp_lt_u32 s[56:57], v1, s[sgprSizeJ]            // coord1 < size1
s_and_b64 s[56:57], s[52:53], s[56:57]             // in0 && in1
_v_add_lshl_u32 v222, v2, v4, 0x1                  // scaleToBpe: accumulate d0 lower and *= bpe into Cin addr
v_cndmask_b32 v222, -1, v222, s[56:57]             // LDC clip if OOB. offset
_v_add_lshl_u32 v221, v3, v4, 0x1                  // scaleToBpe: accumulate d0 lower and *= bpe into Cin addr
v_cndmask_b32 v221, -1, v221, s[56:57]             // LDD clip if OOB. offset
/* (d1,vc1,d0,vc0)=(3,1,2,0) */
s_mov_b32 s52, 128                                 // coordOffset0 d0=2 vc0=0
_v_add_co_u32 v4, vcc, v0, s52                     // coord0.2: coord0 += d0*sg0*VW + vc0
v_cmp_lt_u32 s[52:53], v4, s[sgprSizeI]            // coord0 < size0
v_cmp_lt_u32 s[56:57], v1, s[sgprSizeJ]            // coord1 < size1
s_and_b64 s[56:57], s[52:53], s[56:57]             // in0 && in1
_v_add_lshl_u32 v226, v2, v4, 0x1                  // scaleToBpe: accumulate d0 lower and *= bpe into Cin addr
v_cndmask_b32 v226, -1, v226, s[56:57]             // LDC clip if OOB. offset
_v_add_lshl_u32 v225, v3, v4, 0x1                  // scaleToBpe: accumulate d0 lower and *= bpe into Cin addr
v_cndmask_b32 v225, -1, v225, s[56:57]             // LDD clip if OOB. offset
/* (d1,vc1,d0,vc0)=(3,1,3,0) */
s_mov_b32 s52, 192                                 // coordOffset0 d0=3 vc0=0
_v_add_co_u32 v4, vcc, v0, s52                     // coord0.2: coord0 += d0*sg0*VW + vc0
v_cmp_lt_u32 s[52:53], v4, s[sgprSizeI]            // coord0 < size0
v_cmp_lt_u32 s[56:57], v1, s[sgprSizeJ]            // coord1 < size1
s_and_b64 s[56:57], s[52:53], s[56:57]             // in0 && in1
_v_add_lshl_u32 v230, v2, v4, 0x1                  // scaleToBpe: accumulate d0 lower and *= bpe into Cin addr
v_cndmask_b32 v230, -1, v230, s[56:57]             // LDC clip if OOB. offset
_v_add_lshl_u32 v229, v3, v4, 0x1                  // scaleToBpe: accumulate d0 lower and *= bpe into Cin addr
v_cndmask_b32 v229, -1, v229, s[56:57]             // LDD clip if OOB. offset
/* (d1,vc1,d0,vc0)=(3,2,0,0) */
_v_add_co_u32 v1, vcc, v1, 1                       // coord1.1: coord1Vgpr += d1*sg1*VW + vc1

/* Fix for UseInitialStridesCD, emitAddressSetupCode */
_v_add_u32 v2, v2, s[sgprStrideC1J]                // ROWINC- Move cinRowPtr to next row
_v_add_u32 v3, v3, s[sgprStrideD1J]                // Move coutRowPtr to next row
v_cmp_lt_u32 s[52:53], v0, s[sgprSizeI]            // coord0 < size0
v_cmp_lt_u32 s[56:57], v1, s[sgprSizeJ]            // coord1 < size1
s_and_b64 s[56:57], s[52:53], s[56:57]             // in0 && in1
_v_add_lshl_u32 v234, v2, v0, 0x1                  // scaleToBpe: accumulate d0 lower and *= bpe into Cin addr
v_cndmask_b32 v234, -1, v234, s[56:57]             // LDC clip if OOB. offset
_v_add_lshl_u32 v233, v3, v0, 0x1                  // scaleToBpe: accumulate d0 lower and *= bpe into Cin addr
v_cndmask_b32 v233, -1, v233, s[56:57]             // LDD clip if OOB. offset
/* (d1,vc1,d0,vc0)=(3,2,1,0) */
_v_add_co_u32 v4, vcc, v0, 64                      // coord0.1: coord0 += d0*sg0*VW + vc0
v_cmp_lt_u32 s[52:53], v4, s[sgprSizeI]            // coord0 < size0
v_cmp_lt_u32 s[56:57], v1, s[sgprSizeJ]            // coord1 < size1
s_and_b64 s[56:57], s[52:53], s[56:57]             // in0 && in1
_v_add_lshl_u32 v238, v2, v4, 0x1                  // scaleToBpe: accumulate d0 lower and *= bpe into Cin addr
v_cndmask_b32 v238, -1, v238, s[56:57]             // LDC clip if OOB. offset
_v_add_lshl_u32 v237, v3, v4, 0x1                  // scaleToBpe: accumulate d0 lower and *= bpe into Cin addr
v_cndmask_b32 v237, -1, v237, s[56:57]             // LDD clip if OOB. offset
/* (d1,vc1,d0,vc0)=(3,2,2,0) */
s_mov_b32 s52, 128                                 // coordOffset0 d0=2 vc0=0
_v_add_co_u32 v4, vcc, v0, s52                     // coord0.2: coord0 += d0*sg0*VW + vc0
v_cmp_lt_u32 s[52:53], v4, s[sgprSizeI]            // coord0 < size0
v_cmp_lt_u32 s[56:57], v1, s[sgprSizeJ]            // coord1 < size1
s_and_b64 s[56:57], s[52:53], s[56:57]             // in0 && in1
_v_add_lshl_u32 v242, v2, v4, 0x1                  // scaleToBpe: accumulate d0 lower and *= bpe into Cin addr
v_cndmask_b32 v242, -1, v242, s[56:57]             // LDC clip if OOB. offset
_v_add_lshl_u32 v241, v3, v4, 0x1                  // scaleToBpe: accumulate d0 lower and *= bpe into Cin addr
v_cndmask_b32 v241, -1, v241, s[56:57]             // LDD clip if OOB. offset
/* (d1,vc1,d0,vc0)=(3,2,3,0) */
s_mov_b32 s52, 192                                 // coordOffset0 d0=3 vc0=0
_v_add_co_u32 v4, vcc, v0, s52                     // coord0.2: coord0 += d0*sg0*VW + vc0
v_cmp_lt_u32 s[52:53], v4, s[sgprSizeI]            // coord0 < size0
v_cmp_lt_u32 s[56:57], v1, s[sgprSizeJ]            // coord1 < size1
s_and_b64 s[56:57], s[52:53], s[56:57]             // in0 && in1
_v_add_lshl_u32 v246, v2, v4, 0x1                  // scaleToBpe: accumulate d0 lower and *= bpe into Cin addr
v_cndmask_b32 v246, -1, v246, s[56:57]             // LDC clip if OOB. offset
_v_add_lshl_u32 v245, v3, v4, 0x1                  // scaleToBpe: accumulate d0 lower and *= bpe into Cin addr
v_cndmask_b32 v245, -1, v245, s[56:57]             // LDD clip if OOB. offset
_buffer_load_d16_b16 v8, v7, s[sgprSrdC:sgprSrdC+3], 0, offen offset:0,  sc0 sc1 // load C for beta calc
_buffer_load_d16_b16 v12, v11, s[sgprSrdC:sgprSrdC+3], 0, offen offset:0,  sc0 sc1 // load C for beta calc
	;; [unrolled: 1-line block ×60, first 2 shown]
s_sleep 3 // optimization: sync and wait
s_barrier
v_accvgpr_read_b32 v[vgprValuC+9], acc0 // copy acc to vreg[0]
v_accvgpr_read_b32 v[vgprValuC+13], acc16 // copy acc to vreg[1]
v_accvgpr_read_b32 v[vgprValuC+17], acc32 // copy acc to vreg[2]
v_accvgpr_read_b32 v[vgprValuC+21], acc48 // copy acc to vreg[3]
v_accvgpr_read_b32 v[vgprValuC+25], acc1 // copy acc to vreg[4]
v_accvgpr_read_b32 v[vgprValuC+29], acc17 // copy acc to vreg[5]
v_accvgpr_read_b32 v[vgprValuC+33], acc33 // copy acc to vreg[6]
v_accvgpr_read_b32 v[vgprValuC+37], acc49 // copy acc to vreg[7]
v_accvgpr_read_b32 v[vgprValuC+41], acc2 // copy acc to vreg[8]
v_accvgpr_read_b32 v[vgprValuC+45], acc18 // copy acc to vreg[9]
v_accvgpr_read_b32 v[vgprValuC+49], acc34 // copy acc to vreg[10]
v_accvgpr_read_b32 v[vgprValuC+53], acc50 // copy acc to vreg[11]
v_accvgpr_read_b32 v[vgprValuC+57], acc3 // copy acc to vreg[12]
v_accvgpr_read_b32 v[vgprValuC+61], acc19 // copy acc to vreg[13]
v_accvgpr_read_b32 v[vgprValuC+65], acc35 // copy acc to vreg[14]
v_accvgpr_read_b32 v[vgprValuC+69], acc51 // copy acc to vreg[15]
v_accvgpr_read_b32 v[vgprValuC+73], acc4 // copy acc to vreg[16]
v_accvgpr_read_b32 v[vgprValuC+77], acc20 // copy acc to vreg[17]
v_accvgpr_read_b32 v[vgprValuC+81], acc36 // copy acc to vreg[18]
v_accvgpr_read_b32 v[vgprValuC+85], acc52 // copy acc to vreg[19]
v_accvgpr_read_b32 v[vgprValuC+89], acc5 // copy acc to vreg[20]
v_accvgpr_read_b32 v[vgprValuC+93], acc21 // copy acc to vreg[21]
v_accvgpr_read_b32 v[vgprValuC+97], acc37 // copy acc to vreg[22]
v_accvgpr_read_b32 v[vgprValuC+101], acc53 // copy acc to vreg[23]
v_accvgpr_read_b32 v[vgprValuC+105], acc6 // copy acc to vreg[24]
v_accvgpr_read_b32 v[vgprValuC+109], acc22 // copy acc to vreg[25]
v_accvgpr_read_b32 v[vgprValuC+113], acc38 // copy acc to vreg[26]
v_accvgpr_read_b32 v[vgprValuC+117], acc54 // copy acc to vreg[27]
v_accvgpr_read_b32 v[vgprValuC+121], acc7 // copy acc to vreg[28]
v_accvgpr_read_b32 v[vgprValuC+125], acc23 // copy acc to vreg[29]
v_accvgpr_read_b32 v[vgprValuC+129], acc39 // copy acc to vreg[30]
v_accvgpr_read_b32 v[vgprValuC+133], acc55 // copy acc to vreg[31]
v_accvgpr_read_b32 v[vgprValuC+137], acc8 // copy acc to vreg[32]
v_accvgpr_read_b32 v[vgprValuC+141], acc24 // copy acc to vreg[33]
v_accvgpr_read_b32 v[vgprValuC+145], acc40 // copy acc to vreg[34]
v_accvgpr_read_b32 v[vgprValuC+149], acc56 // copy acc to vreg[35]
v_accvgpr_read_b32 v[vgprValuC+153], acc9 // copy acc to vreg[36]
v_accvgpr_read_b32 v[vgprValuC+157], acc25 // copy acc to vreg[37]
v_accvgpr_read_b32 v[vgprValuC+161], acc41 // copy acc to vreg[38]
v_accvgpr_read_b32 v[vgprValuC+165], acc57 // copy acc to vreg[39]
v_accvgpr_read_b32 v[vgprValuC+169], acc10 // copy acc to vreg[40]
v_accvgpr_read_b32 v[vgprValuC+176], acc26 // copy acc to vreg[41]
v_accvgpr_read_b32 v[vgprValuC+180], acc42 // copy acc to vreg[42]
v_accvgpr_read_b32 v[vgprValuC+184], acc58 // copy acc to vreg[43]
v_accvgpr_read_b32 v[vgprValuC+188], acc11 // copy acc to vreg[44]
v_accvgpr_read_b32 v[vgprValuC+192], acc27 // copy acc to vreg[45]
v_accvgpr_read_b32 v[vgprValuC+196], acc43 // copy acc to vreg[46]
v_accvgpr_read_b32 v[vgprValuC+200], acc59 // copy acc to vreg[47]
v_accvgpr_read_b32 v[vgprValuC+204], acc12 // copy acc to vreg[48]
v_accvgpr_read_b32 v[vgprValuC+208], acc28 // copy acc to vreg[49]
v_accvgpr_read_b32 v[vgprValuC+212], acc44 // copy acc to vreg[50]
v_accvgpr_read_b32 v[vgprValuC+216], acc60 // copy acc to vreg[51]
v_accvgpr_read_b32 v[vgprValuC+220], acc13 // copy acc to vreg[52]
v_accvgpr_read_b32 v[vgprValuC+224], acc29 // copy acc to vreg[53]
v_accvgpr_read_b32 v[vgprValuC+228], acc45 // copy acc to vreg[54]
v_accvgpr_read_b32 v[vgprValuC+232], acc61 // copy acc to vreg[55]
v_accvgpr_read_b32 v[vgprValuC+236], acc14 // copy acc to vreg[56]
v_accvgpr_read_b32 v[vgprValuC+240], acc30 // copy acc to vreg[57]
v_accvgpr_read_b32 v[vgprValuC+244], acc46 // copy acc to vreg[58]
v_accvgpr_read_b32 v[vgprValuC+248], acc62 // copy acc to vreg[59]
s_nop 1                                            // 2 wait states required before reading vgpr

/* rC *= alpha batchElements=[(0, 0, 0, 0), (0, 1, 0, 0), (0, 2, 0, 0), (0, 3, 0, 0), (0, 0, 1, 0), (0, 1, 1, 0), (0, 2, 1, 0), (0, 3, 1, 0), (0, 0, 2, 0), (0, 1, 2, 0), (0, 2, 2, 0), (0, 3, 2, 0), (0, 0, 3, 0), (0, 1, 3, 0), (0, 2, 3, 0), (0, 3, 3, 0), (1, 0, 0, 0), (1, 1, 0, 0), (1, 2, 0, 0), (1, 3, 0, 0), (1, 0, 1, 0), (1, 1, 1, 0), (1, 2, 1, 0), (1, 3, 1, 0), (1, 0, 2, 0), (1, 1, 2, 0), (1, 2, 2, 0), (1, 3, 2, 0), (1, 0, 3, 0), (1, 1, 3, 0), (1, 2, 3, 0), (1, 3, 3, 0), (2, 0, 0, 0), (2, 1, 0, 0), (2, 2, 0, 0), (2, 3, 0, 0), (2, 0, 1, 0), (2, 1, 1, 0), (2, 2, 1, 0), (2, 3, 1, 0), (2, 0, 2, 0), (2, 1, 2, 0), (2, 2, 2, 0), (2, 3, 2, 0), (2, 0, 3, 0), (2, 1, 3, 0), (2, 2, 3, 0), (2, 3, 3, 0), (3, 0, 0, 0), (3, 1, 0, 0), (3, 2, 0, 0), (3, 3, 0, 0), (3, 0, 1, 0), (3, 1, 1, 0), (3, 2, 1, 0), (3, 3, 1, 0), (3, 0, 2, 0), (3, 1, 2, 0), (3, 2, 2, 0), (3, 3, 2, 0)] */
v_mul_f32 v[vgprValuC+9], s[sgprAlpha], v[vgprValuC+9] // *= alpha
v_mul_f32 v[vgprValuC+13], s[sgprAlpha], v[vgprValuC+13] // *= alpha
	;; [unrolled: 1-line block ×60, first 2 shown]
s_waitcnt vmcnt(0)                                 // wait C

/* apply mask, calc new C and issue writes */
v_fma_mix_f32 v[vgprValuC+9], s[sgprBeta], v8, v[vgprValuC+9], op_sel:[0,0,0] op_sel_hi:[0,1,0] // //C*=beta
v_cvt_f16_f32 v[vgprValuC+9], v[vgprValuC+9]       // convert C to fp16
v_fma_mix_f32 v[vgprValuC+13], s[sgprBeta], v12, v[vgprValuC+13], op_sel:[0,0,0] op_sel_hi:[0,1,0] // //C*=beta
v_cvt_f16_f32 v[vgprValuC+13], v[vgprValuC+13]     // convert C to fp16
v_fma_mix_f32 v[vgprValuC+17], s[sgprBeta], v16, v[vgprValuC+17], op_sel:[0,0,0] op_sel_hi:[0,1,0] // //C*=beta
v_cvt_f16_f32 v[vgprValuC+17], v[vgprValuC+17]     // convert C to fp16
	;; [unrolled: 2-line block ×22, first 2 shown]
v_fma_mix_f32 v[vgprValuC+101], s[sgprBeta], v100, v[vgprValuC+101], op_sel:[0,0,0] op_sel_hi:[0,1,0] // //C*=beta
v_cvt_f16_f32 v[vgprValuC+101], v[vgprValuC+101]   // convert C to fp16
v_fma_mix_f32 v[vgprValuC+105], s[sgprBeta], v104, v[vgprValuC+105], op_sel:[0,0,0] op_sel_hi:[0,1,0] // //C*=beta
v_cvt_f16_f32 v[vgprValuC+105], v[vgprValuC+105]   // convert C to fp16
	;; [unrolled: 2-line block ×37, first 2 shown]
_buffer_store_b16 v9, v6, s[sgprSrdD:sgprSrdD+3], 0, offen, offset:0,  sc0 sc1 // store D
_buffer_store_b16 v13, v10, s[sgprSrdD:sgprSrdD+3], 0, offen, offset:0,  sc0 sc1 // store D
	;; [unrolled: 1-line block ×60, first 2 shown]
s_nop 0                                            // 1 wait state required when next inst writes vgprs held by previous dwordx4 store inst
/* optSingleColVgpr=0 optSharedColVgpr=0 optSGPRUsage=BufferLoad_Edge_Mask optSrdIncForRow=0 */
s_sleep 3 // optimization: sync and wait
s_barrier

/******************************************/
/* Global Write Alpha Beta Edge Batch #1 (d1,d0,vc1,vc0) = */
/*    (3,0,3,0:vw1); (3,1,3,0:vw1); (3,2,3,0:vw1); (3,3,3,0:vw1); (4,0,0,0:vw1); (4,1,0,0:vw1); (4,2,0,0:vw1); (4,3,0,0:vw1); (4,0,1,0:vw1); (4,1,1,0:vw1); (4,2,1,0:vw1); (4,3,1,0:vw1); (4,0,2,0:vw1); (4,1,2,0:vw1); (4,2,2,0:vw1); (4,3,2,0:vw1); (4,0,3,0:vw1); (4,1,3,0:vw1); (4,2,3,0:vw1); (4,3,3,0:vw1); (5,0,0,0:vw1); (5,1,0,0:vw1); (5,2,0,0:vw1); (5,3,0,0:vw1); (5,0,1,0:vw1); (5,1,1,0:vw1); (5,2,1,0:vw1); (5,3,1,0:vw1); (5,0,2,0:vw1); (5,1,2,0:vw1); (5,2,2,0:vw1); (5,3,2,0:vw1); (5,0,3,0:vw1); (5,1,3,0:vw1); (5,2,3,0:vw1); (5,3,3,0:vw1); (6,0,0,0:vw1); (6,1,0,0:vw1); (6,2,0,0:vw1); (6,3,0,0:vw1); (6,0,1,0:vw1); (6,1,1,0:vw1); (6,2,1,0:vw1); (6,3,1,0:vw1); (6,0,2,0:vw1); (6,1,2,0:vw1); (6,2,2,0:vw1); (6,3,2,0:vw1); (6,0,3,0:vw1); (6,1,3,0:vw1); (6,2,3,0:vw1); (6,3,3,0:vw1); (7,0,0,0:vw1); (7,1,0,0:vw1); (7,2,0,0:vw1); (7,3,0,0:vw1); (7,0,1,0:vw1); (7,1,1,0:vw1); (7,2,1,0:vw1); (7,3,1,0:vw1) */
/******************************************/

/* calc coords, apply mask, and issue loads (if necessary) */
/* (d1,vc1,d0,vc0)=(3,3,0,0) */
_v_add_co_u32 v1, vcc, v1, 1                       // coord1.1: coord1Vgpr += d1*sg1*VW + vc1

/* Fix for UseInitialStridesCD, emitAddressSetupCode */
_v_add_u32 v2, v2, s[sgprStrideC1J]                // ROWINC- Move cinRowPtr to next row
_v_add_u32 v3, v3, s[sgprStrideD1J]                // Move coutRowPtr to next row
v_cmp_lt_u32 s[52:53], v0, s[sgprSizeI]            // coord0 < size0
v_cmp_lt_u32 s[56:57], v1, s[sgprSizeJ]            // coord1 < size1
s_and_b64 s[56:57], s[52:53], s[56:57]             // in0 && in1
_v_add_lshl_u32 v7, v2, v0, 0x1                    // scaleToBpe: accumulate d0 lower and *= bpe into Cin addr
v_cndmask_b32 v7, -1, v7, s[56:57]                 // LDC clip if OOB. offset
_v_add_lshl_u32 v6, v3, v0, 0x1                    // scaleToBpe: accumulate d0 lower and *= bpe into Cin addr
v_cndmask_b32 v6, -1, v6, s[56:57]                 // LDD clip if OOB. offset
/* (d1,vc1,d0,vc0)=(3,3,1,0) */
_v_add_co_u32 v4, vcc, v0, 64                      // coord0.1: coord0 += d0*sg0*VW + vc0
v_cmp_lt_u32 s[52:53], v4, s[sgprSizeI]            // coord0 < size0
v_cmp_lt_u32 s[56:57], v1, s[sgprSizeJ]            // coord1 < size1
s_and_b64 s[56:57], s[52:53], s[56:57]             // in0 && in1
_v_add_lshl_u32 v11, v2, v4, 0x1                   // scaleToBpe: accumulate d0 lower and *= bpe into Cin addr
v_cndmask_b32 v11, -1, v11, s[56:57]               // LDC clip if OOB. offset
_v_add_lshl_u32 v10, v3, v4, 0x1                   // scaleToBpe: accumulate d0 lower and *= bpe into Cin addr
v_cndmask_b32 v10, -1, v10, s[56:57]               // LDD clip if OOB. offset
/* (d1,vc1,d0,vc0)=(3,3,2,0) */
s_mov_b32 s52, 128                                 // coordOffset0 d0=2 vc0=0
_v_add_co_u32 v4, vcc, v0, s52                     // coord0.2: coord0 += d0*sg0*VW + vc0
v_cmp_lt_u32 s[52:53], v4, s[sgprSizeI]            // coord0 < size0
v_cmp_lt_u32 s[56:57], v1, s[sgprSizeJ]            // coord1 < size1
s_and_b64 s[56:57], s[52:53], s[56:57]             // in0 && in1
_v_add_lshl_u32 v15, v2, v4, 0x1                   // scaleToBpe: accumulate d0 lower and *= bpe into Cin addr
v_cndmask_b32 v15, -1, v15, s[56:57]               // LDC clip if OOB. offset
_v_add_lshl_u32 v14, v3, v4, 0x1                   // scaleToBpe: accumulate d0 lower and *= bpe into Cin addr
v_cndmask_b32 v14, -1, v14, s[56:57]               // LDD clip if OOB. offset
/* (d1,vc1,d0,vc0)=(3,3,3,0) */
s_mov_b32 s52, 192                                 // coordOffset0 d0=3 vc0=0
_v_add_co_u32 v4, vcc, v0, s52                     // coord0.2: coord0 += d0*sg0*VW + vc0
v_cmp_lt_u32 s[52:53], v4, s[sgprSizeI]            // coord0 < size0
v_cmp_lt_u32 s[56:57], v1, s[sgprSizeJ]            // coord1 < size1
s_and_b64 s[56:57], s[52:53], s[56:57]             // in0 && in1
_v_add_lshl_u32 v19, v2, v4, 0x1                   // scaleToBpe: accumulate d0 lower and *= bpe into Cin addr
v_cndmask_b32 v19, -1, v19, s[56:57]               // LDC clip if OOB. offset
_v_add_lshl_u32 v18, v3, v4, 0x1                   // scaleToBpe: accumulate d0 lower and *= bpe into Cin addr
v_cndmask_b32 v18, -1, v18, s[56:57]               // LDD clip if OOB. offset
/* (d1,vc1,d0,vc0)=(4,0,0,0) */
_v_add_co_u32 v1, vcc, v1, 37                      // coord1.1: coord1Vgpr += d1*sg1*VW + vc1

/* Fix for UseInitialStridesCD, emitAddressSetupCode */
s_mul_i32 s52, s[sgprStrideC1J], 37                // scale stride
_v_add_u32 v2, v2, s52                             // ROWINC- Move cinRowPtr to next row
s_mul_i32 s52, s[sgprStrideD1J], 37                // scale stride
_v_add_u32 v3, v3, s52                             // Move coutRowPtr to next row
v_cmp_lt_u32 s[52:53], v0, s[sgprSizeI]            // coord0 < size0
v_cmp_lt_u32 s[56:57], v1, s[sgprSizeJ]            // coord1 < size1
s_and_b64 s[56:57], s[52:53], s[56:57]             // in0 && in1
_v_add_lshl_u32 v23, v2, v0, 0x1                   // scaleToBpe: accumulate d0 lower and *= bpe into Cin addr
v_cndmask_b32 v23, -1, v23, s[56:57]               // LDC clip if OOB. offset
_v_add_lshl_u32 v22, v3, v0, 0x1                   // scaleToBpe: accumulate d0 lower and *= bpe into Cin addr
v_cndmask_b32 v22, -1, v22, s[56:57]               // LDD clip if OOB. offset
/* (d1,vc1,d0,vc0)=(4,0,1,0) */
_v_add_co_u32 v4, vcc, v0, 64                      // coord0.1: coord0 += d0*sg0*VW + vc0
v_cmp_lt_u32 s[52:53], v4, s[sgprSizeI]            // coord0 < size0
v_cmp_lt_u32 s[56:57], v1, s[sgprSizeJ]            // coord1 < size1
s_and_b64 s[56:57], s[52:53], s[56:57]             // in0 && in1
_v_add_lshl_u32 v27, v2, v4, 0x1                   // scaleToBpe: accumulate d0 lower and *= bpe into Cin addr
v_cndmask_b32 v27, -1, v27, s[56:57]               // LDC clip if OOB. offset
_v_add_lshl_u32 v26, v3, v4, 0x1                   // scaleToBpe: accumulate d0 lower and *= bpe into Cin addr
v_cndmask_b32 v26, -1, v26, s[56:57]               // LDD clip if OOB. offset
/* (d1,vc1,d0,vc0)=(4,0,2,0) */
s_mov_b32 s52, 128                                 // coordOffset0 d0=2 vc0=0
_v_add_co_u32 v4, vcc, v0, s52                     // coord0.2: coord0 += d0*sg0*VW + vc0
v_cmp_lt_u32 s[52:53], v4, s[sgprSizeI]            // coord0 < size0
v_cmp_lt_u32 s[56:57], v1, s[sgprSizeJ]            // coord1 < size1
s_and_b64 s[56:57], s[52:53], s[56:57]             // in0 && in1
_v_add_lshl_u32 v31, v2, v4, 0x1                   // scaleToBpe: accumulate d0 lower and *= bpe into Cin addr
v_cndmask_b32 v31, -1, v31, s[56:57]               // LDC clip if OOB. offset
_v_add_lshl_u32 v30, v3, v4, 0x1                   // scaleToBpe: accumulate d0 lower and *= bpe into Cin addr
v_cndmask_b32 v30, -1, v30, s[56:57]               // LDD clip if OOB. offset
/* (d1,vc1,d0,vc0)=(4,0,3,0) */
s_mov_b32 s52, 192                                 // coordOffset0 d0=3 vc0=0
_v_add_co_u32 v4, vcc, v0, s52                     // coord0.2: coord0 += d0*sg0*VW + vc0
v_cmp_lt_u32 s[52:53], v4, s[sgprSizeI]            // coord0 < size0
v_cmp_lt_u32 s[56:57], v1, s[sgprSizeJ]            // coord1 < size1
s_and_b64 s[56:57], s[52:53], s[56:57]             // in0 && in1
_v_add_lshl_u32 v35, v2, v4, 0x1                   // scaleToBpe: accumulate d0 lower and *= bpe into Cin addr
v_cndmask_b32 v35, -1, v35, s[56:57]               // LDC clip if OOB. offset
_v_add_lshl_u32 v34, v3, v4, 0x1                   // scaleToBpe: accumulate d0 lower and *= bpe into Cin addr
v_cndmask_b32 v34, -1, v34, s[56:57]               // LDD clip if OOB. offset
/* (d1,vc1,d0,vc0)=(4,1,0,0) */
_v_add_co_u32 v1, vcc, v1, 1                       // coord1.1: coord1Vgpr += d1*sg1*VW + vc1

/* Fix for UseInitialStridesCD, emitAddressSetupCode */
_v_add_u32 v2, v2, s[sgprStrideC1J]                // ROWINC- Move cinRowPtr to next row
_v_add_u32 v3, v3, s[sgprStrideD1J]                // Move coutRowPtr to next row
v_cmp_lt_u32 s[52:53], v0, s[sgprSizeI]            // coord0 < size0
v_cmp_lt_u32 s[56:57], v1, s[sgprSizeJ]            // coord1 < size1
s_and_b64 s[56:57], s[52:53], s[56:57]             // in0 && in1
_v_add_lshl_u32 v39, v2, v0, 0x1                   // scaleToBpe: accumulate d0 lower and *= bpe into Cin addr
v_cndmask_b32 v39, -1, v39, s[56:57]               // LDC clip if OOB. offset
_v_add_lshl_u32 v38, v3, v0, 0x1                   // scaleToBpe: accumulate d0 lower and *= bpe into Cin addr
v_cndmask_b32 v38, -1, v38, s[56:57]               // LDD clip if OOB. offset
/* (d1,vc1,d0,vc0)=(4,1,1,0) */
_v_add_co_u32 v4, vcc, v0, 64                      // coord0.1: coord0 += d0*sg0*VW + vc0
v_cmp_lt_u32 s[52:53], v4, s[sgprSizeI]            // coord0 < size0
v_cmp_lt_u32 s[56:57], v1, s[sgprSizeJ]            // coord1 < size1
s_and_b64 s[56:57], s[52:53], s[56:57]             // in0 && in1
_v_add_lshl_u32 v43, v2, v4, 0x1                   // scaleToBpe: accumulate d0 lower and *= bpe into Cin addr
v_cndmask_b32 v43, -1, v43, s[56:57]               // LDC clip if OOB. offset
_v_add_lshl_u32 v42, v3, v4, 0x1                   // scaleToBpe: accumulate d0 lower and *= bpe into Cin addr
v_cndmask_b32 v42, -1, v42, s[56:57]               // LDD clip if OOB. offset
/* (d1,vc1,d0,vc0)=(4,1,2,0) */
s_mov_b32 s52, 128                                 // coordOffset0 d0=2 vc0=0
_v_add_co_u32 v4, vcc, v0, s52                     // coord0.2: coord0 += d0*sg0*VW + vc0
v_cmp_lt_u32 s[52:53], v4, s[sgprSizeI]            // coord0 < size0
v_cmp_lt_u32 s[56:57], v1, s[sgprSizeJ]            // coord1 < size1
s_and_b64 s[56:57], s[52:53], s[56:57]             // in0 && in1
_v_add_lshl_u32 v47, v2, v4, 0x1                   // scaleToBpe: accumulate d0 lower and *= bpe into Cin addr
v_cndmask_b32 v47, -1, v47, s[56:57]               // LDC clip if OOB. offset
_v_add_lshl_u32 v46, v3, v4, 0x1                   // scaleToBpe: accumulate d0 lower and *= bpe into Cin addr
v_cndmask_b32 v46, -1, v46, s[56:57]               // LDD clip if OOB. offset
/* (d1,vc1,d0,vc0)=(4,1,3,0) */
s_mov_b32 s52, 192                                 // coordOffset0 d0=3 vc0=0
_v_add_co_u32 v4, vcc, v0, s52                     // coord0.2: coord0 += d0*sg0*VW + vc0
v_cmp_lt_u32 s[52:53], v4, s[sgprSizeI]            // coord0 < size0
v_cmp_lt_u32 s[56:57], v1, s[sgprSizeJ]            // coord1 < size1
s_and_b64 s[56:57], s[52:53], s[56:57]             // in0 && in1
_v_add_lshl_u32 v51, v2, v4, 0x1                   // scaleToBpe: accumulate d0 lower and *= bpe into Cin addr
v_cndmask_b32 v51, -1, v51, s[56:57]               // LDC clip if OOB. offset
_v_add_lshl_u32 v50, v3, v4, 0x1                   // scaleToBpe: accumulate d0 lower and *= bpe into Cin addr
v_cndmask_b32 v50, -1, v50, s[56:57]               // LDD clip if OOB. offset
/* (d1,vc1,d0,vc0)=(4,2,0,0) */
_v_add_co_u32 v1, vcc, v1, 1                       // coord1.1: coord1Vgpr += d1*sg1*VW + vc1

/* Fix for UseInitialStridesCD, emitAddressSetupCode */
_v_add_u32 v2, v2, s[sgprStrideC1J]                // ROWINC- Move cinRowPtr to next row
_v_add_u32 v3, v3, s[sgprStrideD1J]                // Move coutRowPtr to next row
v_cmp_lt_u32 s[52:53], v0, s[sgprSizeI]            // coord0 < size0
v_cmp_lt_u32 s[56:57], v1, s[sgprSizeJ]            // coord1 < size1
s_and_b64 s[56:57], s[52:53], s[56:57]             // in0 && in1
_v_add_lshl_u32 v55, v2, v0, 0x1                   // scaleToBpe: accumulate d0 lower and *= bpe into Cin addr
v_cndmask_b32 v55, -1, v55, s[56:57]               // LDC clip if OOB. offset
_v_add_lshl_u32 v54, v3, v0, 0x1                   // scaleToBpe: accumulate d0 lower and *= bpe into Cin addr
v_cndmask_b32 v54, -1, v54, s[56:57]               // LDD clip if OOB. offset
/* (d1,vc1,d0,vc0)=(4,2,1,0) */
_v_add_co_u32 v4, vcc, v0, 64                      // coord0.1: coord0 += d0*sg0*VW + vc0
v_cmp_lt_u32 s[52:53], v4, s[sgprSizeI]            // coord0 < size0
v_cmp_lt_u32 s[56:57], v1, s[sgprSizeJ]            // coord1 < size1
s_and_b64 s[56:57], s[52:53], s[56:57]             // in0 && in1
_v_add_lshl_u32 v59, v2, v4, 0x1                   // scaleToBpe: accumulate d0 lower and *= bpe into Cin addr
v_cndmask_b32 v59, -1, v59, s[56:57]               // LDC clip if OOB. offset
_v_add_lshl_u32 v58, v3, v4, 0x1                   // scaleToBpe: accumulate d0 lower and *= bpe into Cin addr
v_cndmask_b32 v58, -1, v58, s[56:57]               // LDD clip if OOB. offset
/* (d1,vc1,d0,vc0)=(4,2,2,0) */
s_mov_b32 s52, 128                                 // coordOffset0 d0=2 vc0=0
_v_add_co_u32 v4, vcc, v0, s52                     // coord0.2: coord0 += d0*sg0*VW + vc0
v_cmp_lt_u32 s[52:53], v4, s[sgprSizeI]            // coord0 < size0
v_cmp_lt_u32 s[56:57], v1, s[sgprSizeJ]            // coord1 < size1
s_and_b64 s[56:57], s[52:53], s[56:57]             // in0 && in1
_v_add_lshl_u32 v63, v2, v4, 0x1                   // scaleToBpe: accumulate d0 lower and *= bpe into Cin addr
v_cndmask_b32 v63, -1, v63, s[56:57]               // LDC clip if OOB. offset
_v_add_lshl_u32 v62, v3, v4, 0x1                   // scaleToBpe: accumulate d0 lower and *= bpe into Cin addr
v_cndmask_b32 v62, -1, v62, s[56:57]               // LDD clip if OOB. offset
/* (d1,vc1,d0,vc0)=(4,2,3,0) */
s_mov_b32 s52, 192                                 // coordOffset0 d0=3 vc0=0
_v_add_co_u32 v4, vcc, v0, s52                     // coord0.2: coord0 += d0*sg0*VW + vc0
v_cmp_lt_u32 s[52:53], v4, s[sgprSizeI]            // coord0 < size0
v_cmp_lt_u32 s[56:57], v1, s[sgprSizeJ]            // coord1 < size1
s_and_b64 s[56:57], s[52:53], s[56:57]             // in0 && in1
_v_add_lshl_u32 v67, v2, v4, 0x1                   // scaleToBpe: accumulate d0 lower and *= bpe into Cin addr
v_cndmask_b32 v67, -1, v67, s[56:57]               // LDC clip if OOB. offset
_v_add_lshl_u32 v66, v3, v4, 0x1                   // scaleToBpe: accumulate d0 lower and *= bpe into Cin addr
v_cndmask_b32 v66, -1, v66, s[56:57]               // LDD clip if OOB. offset
/* (d1,vc1,d0,vc0)=(4,3,0,0) */
_v_add_co_u32 v1, vcc, v1, 1                       // coord1.1: coord1Vgpr += d1*sg1*VW + vc1

/* Fix for UseInitialStridesCD, emitAddressSetupCode */
_v_add_u32 v2, v2, s[sgprStrideC1J]                // ROWINC- Move cinRowPtr to next row
_v_add_u32 v3, v3, s[sgprStrideD1J]                // Move coutRowPtr to next row
v_cmp_lt_u32 s[52:53], v0, s[sgprSizeI]            // coord0 < size0
v_cmp_lt_u32 s[56:57], v1, s[sgprSizeJ]            // coord1 < size1
s_and_b64 s[56:57], s[52:53], s[56:57]             // in0 && in1
_v_add_lshl_u32 v71, v2, v0, 0x1                   // scaleToBpe: accumulate d0 lower and *= bpe into Cin addr
v_cndmask_b32 v71, -1, v71, s[56:57]               // LDC clip if OOB. offset
_v_add_lshl_u32 v70, v3, v0, 0x1                   // scaleToBpe: accumulate d0 lower and *= bpe into Cin addr
v_cndmask_b32 v70, -1, v70, s[56:57]               // LDD clip if OOB. offset
/* (d1,vc1,d0,vc0)=(4,3,1,0) */
_v_add_co_u32 v4, vcc, v0, 64                      // coord0.1: coord0 += d0*sg0*VW + vc0
v_cmp_lt_u32 s[52:53], v4, s[sgprSizeI]            // coord0 < size0
v_cmp_lt_u32 s[56:57], v1, s[sgprSizeJ]            // coord1 < size1
s_and_b64 s[56:57], s[52:53], s[56:57]             // in0 && in1
_v_add_lshl_u32 v75, v2, v4, 0x1                   // scaleToBpe: accumulate d0 lower and *= bpe into Cin addr
v_cndmask_b32 v75, -1, v75, s[56:57]               // LDC clip if OOB. offset
_v_add_lshl_u32 v74, v3, v4, 0x1                   // scaleToBpe: accumulate d0 lower and *= bpe into Cin addr
v_cndmask_b32 v74, -1, v74, s[56:57]               // LDD clip if OOB. offset
/* (d1,vc1,d0,vc0)=(4,3,2,0) */
s_mov_b32 s52, 128                                 // coordOffset0 d0=2 vc0=0
_v_add_co_u32 v4, vcc, v0, s52                     // coord0.2: coord0 += d0*sg0*VW + vc0
v_cmp_lt_u32 s[52:53], v4, s[sgprSizeI]            // coord0 < size0
v_cmp_lt_u32 s[56:57], v1, s[sgprSizeJ]            // coord1 < size1
s_and_b64 s[56:57], s[52:53], s[56:57]             // in0 && in1
_v_add_lshl_u32 v79, v2, v4, 0x1                   // scaleToBpe: accumulate d0 lower and *= bpe into Cin addr
v_cndmask_b32 v79, -1, v79, s[56:57]               // LDC clip if OOB. offset
_v_add_lshl_u32 v78, v3, v4, 0x1                   // scaleToBpe: accumulate d0 lower and *= bpe into Cin addr
v_cndmask_b32 v78, -1, v78, s[56:57]               // LDD clip if OOB. offset
/* (d1,vc1,d0,vc0)=(4,3,3,0) */
s_mov_b32 s52, 192                                 // coordOffset0 d0=3 vc0=0
_v_add_co_u32 v4, vcc, v0, s52                     // coord0.2: coord0 += d0*sg0*VW + vc0
v_cmp_lt_u32 s[52:53], v4, s[sgprSizeI]            // coord0 < size0
v_cmp_lt_u32 s[56:57], v1, s[sgprSizeJ]            // coord1 < size1
s_and_b64 s[56:57], s[52:53], s[56:57]             // in0 && in1
_v_add_lshl_u32 v83, v2, v4, 0x1                   // scaleToBpe: accumulate d0 lower and *= bpe into Cin addr
v_cndmask_b32 v83, -1, v83, s[56:57]               // LDC clip if OOB. offset
_v_add_lshl_u32 v82, v3, v4, 0x1                   // scaleToBpe: accumulate d0 lower and *= bpe into Cin addr
v_cndmask_b32 v82, -1, v82, s[56:57]               // LDD clip if OOB. offset
/* (d1,vc1,d0,vc0)=(5,0,0,0) */
_v_add_co_u32 v1, vcc, v1, 5                       // coord1.1: coord1Vgpr += d1*sg1*VW + vc1

/* Fix for UseInitialStridesCD, emitAddressSetupCode */
s_mul_i32 s52, s[sgprStrideC1J], 5                 // scale stride
_v_add_u32 v2, v2, s52                             // ROWINC- Move cinRowPtr to next row
s_mul_i32 s52, s[sgprStrideD1J], 5                 // scale stride
_v_add_u32 v3, v3, s52                             // Move coutRowPtr to next row
v_cmp_lt_u32 s[52:53], v0, s[sgprSizeI]            // coord0 < size0
v_cmp_lt_u32 s[56:57], v1, s[sgprSizeJ]            // coord1 < size1
s_and_b64 s[56:57], s[52:53], s[56:57]             // in0 && in1
_v_add_lshl_u32 v87, v2, v0, 0x1                   // scaleToBpe: accumulate d0 lower and *= bpe into Cin addr
v_cndmask_b32 v87, -1, v87, s[56:57]               // LDC clip if OOB. offset
_v_add_lshl_u32 v86, v3, v0, 0x1                   // scaleToBpe: accumulate d0 lower and *= bpe into Cin addr
v_cndmask_b32 v86, -1, v86, s[56:57]               // LDD clip if OOB. offset
/* (d1,vc1,d0,vc0)=(5,0,1,0) */
_v_add_co_u32 v4, vcc, v0, 64                      // coord0.1: coord0 += d0*sg0*VW + vc0
v_cmp_lt_u32 s[52:53], v4, s[sgprSizeI]            // coord0 < size0
v_cmp_lt_u32 s[56:57], v1, s[sgprSizeJ]            // coord1 < size1
s_and_b64 s[56:57], s[52:53], s[56:57]             // in0 && in1
_v_add_lshl_u32 v91, v2, v4, 0x1                   // scaleToBpe: accumulate d0 lower and *= bpe into Cin addr
v_cndmask_b32 v91, -1, v91, s[56:57]               // LDC clip if OOB. offset
_v_add_lshl_u32 v90, v3, v4, 0x1                   // scaleToBpe: accumulate d0 lower and *= bpe into Cin addr
v_cndmask_b32 v90, -1, v90, s[56:57]               // LDD clip if OOB. offset
/* (d1,vc1,d0,vc0)=(5,0,2,0) */
s_mov_b32 s52, 128                                 // coordOffset0 d0=2 vc0=0
_v_add_co_u32 v4, vcc, v0, s52                     // coord0.2: coord0 += d0*sg0*VW + vc0
v_cmp_lt_u32 s[52:53], v4, s[sgprSizeI]            // coord0 < size0
v_cmp_lt_u32 s[56:57], v1, s[sgprSizeJ]            // coord1 < size1
s_and_b64 s[56:57], s[52:53], s[56:57]             // in0 && in1
_v_add_lshl_u32 v95, v2, v4, 0x1                   // scaleToBpe: accumulate d0 lower and *= bpe into Cin addr
v_cndmask_b32 v95, -1, v95, s[56:57]               // LDC clip if OOB. offset
_v_add_lshl_u32 v94, v3, v4, 0x1                   // scaleToBpe: accumulate d0 lower and *= bpe into Cin addr
v_cndmask_b32 v94, -1, v94, s[56:57]               // LDD clip if OOB. offset
/* (d1,vc1,d0,vc0)=(5,0,3,0) */
s_mov_b32 s52, 192                                 // coordOffset0 d0=3 vc0=0
_v_add_co_u32 v4, vcc, v0, s52                     // coord0.2: coord0 += d0*sg0*VW + vc0
v_cmp_lt_u32 s[52:53], v4, s[sgprSizeI]            // coord0 < size0
v_cmp_lt_u32 s[56:57], v1, s[sgprSizeJ]            // coord1 < size1
s_and_b64 s[56:57], s[52:53], s[56:57]             // in0 && in1
_v_add_lshl_u32 v99, v2, v4, 0x1                   // scaleToBpe: accumulate d0 lower and *= bpe into Cin addr
v_cndmask_b32 v99, -1, v99, s[56:57]               // LDC clip if OOB. offset
_v_add_lshl_u32 v98, v3, v4, 0x1                   // scaleToBpe: accumulate d0 lower and *= bpe into Cin addr
v_cndmask_b32 v98, -1, v98, s[56:57]               // LDD clip if OOB. offset
/* (d1,vc1,d0,vc0)=(5,1,0,0) */
_v_add_co_u32 v1, vcc, v1, 1                       // coord1.1: coord1Vgpr += d1*sg1*VW + vc1

/* Fix for UseInitialStridesCD, emitAddressSetupCode */
_v_add_u32 v2, v2, s[sgprStrideC1J]                // ROWINC- Move cinRowPtr to next row
_v_add_u32 v3, v3, s[sgprStrideD1J]                // Move coutRowPtr to next row
v_cmp_lt_u32 s[52:53], v0, s[sgprSizeI]            // coord0 < size0
v_cmp_lt_u32 s[56:57], v1, s[sgprSizeJ]            // coord1 < size1
s_and_b64 s[56:57], s[52:53], s[56:57]             // in0 && in1
_v_add_lshl_u32 v103, v2, v0, 0x1                  // scaleToBpe: accumulate d0 lower and *= bpe into Cin addr
v_cndmask_b32 v103, -1, v103, s[56:57]             // LDC clip if OOB. offset
_v_add_lshl_u32 v102, v3, v0, 0x1                  // scaleToBpe: accumulate d0 lower and *= bpe into Cin addr
v_cndmask_b32 v102, -1, v102, s[56:57]             // LDD clip if OOB. offset
/* (d1,vc1,d0,vc0)=(5,1,1,0) */
_v_add_co_u32 v4, vcc, v0, 64                      // coord0.1: coord0 += d0*sg0*VW + vc0
v_cmp_lt_u32 s[52:53], v4, s[sgprSizeI]            // coord0 < size0
v_cmp_lt_u32 s[56:57], v1, s[sgprSizeJ]            // coord1 < size1
s_and_b64 s[56:57], s[52:53], s[56:57]             // in0 && in1
_v_add_lshl_u32 v107, v2, v4, 0x1                  // scaleToBpe: accumulate d0 lower and *= bpe into Cin addr
v_cndmask_b32 v107, -1, v107, s[56:57]             // LDC clip if OOB. offset
_v_add_lshl_u32 v106, v3, v4, 0x1                  // scaleToBpe: accumulate d0 lower and *= bpe into Cin addr
v_cndmask_b32 v106, -1, v106, s[56:57]             // LDD clip if OOB. offset
/* (d1,vc1,d0,vc0)=(5,1,2,0) */
s_mov_b32 s52, 128                                 // coordOffset0 d0=2 vc0=0
_v_add_co_u32 v4, vcc, v0, s52                     // coord0.2: coord0 += d0*sg0*VW + vc0
v_cmp_lt_u32 s[52:53], v4, s[sgprSizeI]            // coord0 < size0
v_cmp_lt_u32 s[56:57], v1, s[sgprSizeJ]            // coord1 < size1
s_and_b64 s[56:57], s[52:53], s[56:57]             // in0 && in1
_v_add_lshl_u32 v111, v2, v4, 0x1                  // scaleToBpe: accumulate d0 lower and *= bpe into Cin addr
v_cndmask_b32 v111, -1, v111, s[56:57]             // LDC clip if OOB. offset
_v_add_lshl_u32 v110, v3, v4, 0x1                  // scaleToBpe: accumulate d0 lower and *= bpe into Cin addr
v_cndmask_b32 v110, -1, v110, s[56:57]             // LDD clip if OOB. offset
/* (d1,vc1,d0,vc0)=(5,1,3,0) */
s_mov_b32 s52, 192                                 // coordOffset0 d0=3 vc0=0
_v_add_co_u32 v4, vcc, v0, s52                     // coord0.2: coord0 += d0*sg0*VW + vc0
v_cmp_lt_u32 s[52:53], v4, s[sgprSizeI]            // coord0 < size0
v_cmp_lt_u32 s[56:57], v1, s[sgprSizeJ]            // coord1 < size1
s_and_b64 s[56:57], s[52:53], s[56:57]             // in0 && in1
_v_add_lshl_u32 v115, v2, v4, 0x1                  // scaleToBpe: accumulate d0 lower and *= bpe into Cin addr
v_cndmask_b32 v115, -1, v115, s[56:57]             // LDC clip if OOB. offset
_v_add_lshl_u32 v114, v3, v4, 0x1                  // scaleToBpe: accumulate d0 lower and *= bpe into Cin addr
v_cndmask_b32 v114, -1, v114, s[56:57]             // LDD clip if OOB. offset
/* (d1,vc1,d0,vc0)=(5,2,0,0) */
_v_add_co_u32 v1, vcc, v1, 1                       // coord1.1: coord1Vgpr += d1*sg1*VW + vc1

/* Fix for UseInitialStridesCD, emitAddressSetupCode */
_v_add_u32 v2, v2, s[sgprStrideC1J]                // ROWINC- Move cinRowPtr to next row
_v_add_u32 v3, v3, s[sgprStrideD1J]                // Move coutRowPtr to next row
v_cmp_lt_u32 s[52:53], v0, s[sgprSizeI]            // coord0 < size0
v_cmp_lt_u32 s[56:57], v1, s[sgprSizeJ]            // coord1 < size1
s_and_b64 s[56:57], s[52:53], s[56:57]             // in0 && in1
_v_add_lshl_u32 v119, v2, v0, 0x1                  // scaleToBpe: accumulate d0 lower and *= bpe into Cin addr
v_cndmask_b32 v119, -1, v119, s[56:57]             // LDC clip if OOB. offset
_v_add_lshl_u32 v118, v3, v0, 0x1                  // scaleToBpe: accumulate d0 lower and *= bpe into Cin addr
v_cndmask_b32 v118, -1, v118, s[56:57]             // LDD clip if OOB. offset
/* (d1,vc1,d0,vc0)=(5,2,1,0) */
_v_add_co_u32 v4, vcc, v0, 64                      // coord0.1: coord0 += d0*sg0*VW + vc0
v_cmp_lt_u32 s[52:53], v4, s[sgprSizeI]            // coord0 < size0
v_cmp_lt_u32 s[56:57], v1, s[sgprSizeJ]            // coord1 < size1
s_and_b64 s[56:57], s[52:53], s[56:57]             // in0 && in1
_v_add_lshl_u32 v123, v2, v4, 0x1                  // scaleToBpe: accumulate d0 lower and *= bpe into Cin addr
v_cndmask_b32 v123, -1, v123, s[56:57]             // LDC clip if OOB. offset
_v_add_lshl_u32 v122, v3, v4, 0x1                  // scaleToBpe: accumulate d0 lower and *= bpe into Cin addr
v_cndmask_b32 v122, -1, v122, s[56:57]             // LDD clip if OOB. offset
/* (d1,vc1,d0,vc0)=(5,2,2,0) */
s_mov_b32 s52, 128                                 // coordOffset0 d0=2 vc0=0
_v_add_co_u32 v4, vcc, v0, s52                     // coord0.2: coord0 += d0*sg0*VW + vc0
v_cmp_lt_u32 s[52:53], v4, s[sgprSizeI]            // coord0 < size0
v_cmp_lt_u32 s[56:57], v1, s[sgprSizeJ]            // coord1 < size1
s_and_b64 s[56:57], s[52:53], s[56:57]             // in0 && in1
_v_add_lshl_u32 v127, v2, v4, 0x1                  // scaleToBpe: accumulate d0 lower and *= bpe into Cin addr
v_cndmask_b32 v127, -1, v127, s[56:57]             // LDC clip if OOB. offset
_v_add_lshl_u32 v126, v3, v4, 0x1                  // scaleToBpe: accumulate d0 lower and *= bpe into Cin addr
v_cndmask_b32 v126, -1, v126, s[56:57]             // LDD clip if OOB. offset
/* (d1,vc1,d0,vc0)=(5,2,3,0) */
s_mov_b32 s52, 192                                 // coordOffset0 d0=3 vc0=0
_v_add_co_u32 v4, vcc, v0, s52                     // coord0.2: coord0 += d0*sg0*VW + vc0
v_cmp_lt_u32 s[52:53], v4, s[sgprSizeI]            // coord0 < size0
v_cmp_lt_u32 s[56:57], v1, s[sgprSizeJ]            // coord1 < size1
s_and_b64 s[56:57], s[52:53], s[56:57]             // in0 && in1
_v_add_lshl_u32 v131, v2, v4, 0x1                  // scaleToBpe: accumulate d0 lower and *= bpe into Cin addr
v_cndmask_b32 v131, -1, v131, s[56:57]             // LDC clip if OOB. offset
_v_add_lshl_u32 v130, v3, v4, 0x1                  // scaleToBpe: accumulate d0 lower and *= bpe into Cin addr
v_cndmask_b32 v130, -1, v130, s[56:57]             // LDD clip if OOB. offset
	;; [unrolled: 42-line block ×3, first 2 shown]
/* (d1,vc1,d0,vc0)=(6,0,0,0) */
_v_add_co_u32 v1, vcc, v1, 5                       // coord1.1: coord1Vgpr += d1*sg1*VW + vc1

/* Fix for UseInitialStridesCD, emitAddressSetupCode */
s_mul_i32 s52, s[sgprStrideC1J], 5                 // scale stride
_v_add_u32 v2, v2, s52                             // ROWINC- Move cinRowPtr to next row
s_mul_i32 s52, s[sgprStrideD1J], 5                 // scale stride
_v_add_u32 v3, v3, s52                             // Move coutRowPtr to next row
v_cmp_lt_u32 s[52:53], v0, s[sgprSizeI]            // coord0 < size0
v_cmp_lt_u32 s[56:57], v1, s[sgprSizeJ]            // coord1 < size1
s_and_b64 s[56:57], s[52:53], s[56:57]             // in0 && in1
_v_add_lshl_u32 v151, v2, v0, 0x1                  // scaleToBpe: accumulate d0 lower and *= bpe into Cin addr
v_cndmask_b32 v151, -1, v151, s[56:57]             // LDC clip if OOB. offset
_v_add_lshl_u32 v150, v3, v0, 0x1                  // scaleToBpe: accumulate d0 lower and *= bpe into Cin addr
v_cndmask_b32 v150, -1, v150, s[56:57]             // LDD clip if OOB. offset
/* (d1,vc1,d0,vc0)=(6,0,1,0) */
_v_add_co_u32 v4, vcc, v0, 64                      // coord0.1: coord0 += d0*sg0*VW + vc0
v_cmp_lt_u32 s[52:53], v4, s[sgprSizeI]            // coord0 < size0
v_cmp_lt_u32 s[56:57], v1, s[sgprSizeJ]            // coord1 < size1
s_and_b64 s[56:57], s[52:53], s[56:57]             // in0 && in1
_v_add_lshl_u32 v155, v2, v4, 0x1                  // scaleToBpe: accumulate d0 lower and *= bpe into Cin addr
v_cndmask_b32 v155, -1, v155, s[56:57]             // LDC clip if OOB. offset
_v_add_lshl_u32 v154, v3, v4, 0x1                  // scaleToBpe: accumulate d0 lower and *= bpe into Cin addr
v_cndmask_b32 v154, -1, v154, s[56:57]             // LDD clip if OOB. offset
/* (d1,vc1,d0,vc0)=(6,0,2,0) */
s_mov_b32 s52, 128                                 // coordOffset0 d0=2 vc0=0
_v_add_co_u32 v4, vcc, v0, s52                     // coord0.2: coord0 += d0*sg0*VW + vc0
v_cmp_lt_u32 s[52:53], v4, s[sgprSizeI]            // coord0 < size0
v_cmp_lt_u32 s[56:57], v1, s[sgprSizeJ]            // coord1 < size1
s_and_b64 s[56:57], s[52:53], s[56:57]             // in0 && in1
_v_add_lshl_u32 v159, v2, v4, 0x1                  // scaleToBpe: accumulate d0 lower and *= bpe into Cin addr
v_cndmask_b32 v159, -1, v159, s[56:57]             // LDC clip if OOB. offset
_v_add_lshl_u32 v158, v3, v4, 0x1                  // scaleToBpe: accumulate d0 lower and *= bpe into Cin addr
v_cndmask_b32 v158, -1, v158, s[56:57]             // LDD clip if OOB. offset
/* (d1,vc1,d0,vc0)=(6,0,3,0) */
s_mov_b32 s52, 192                                 // coordOffset0 d0=3 vc0=0
_v_add_co_u32 v4, vcc, v0, s52                     // coord0.2: coord0 += d0*sg0*VW + vc0
v_cmp_lt_u32 s[52:53], v4, s[sgprSizeI]            // coord0 < size0
v_cmp_lt_u32 s[56:57], v1, s[sgprSizeJ]            // coord1 < size1
s_and_b64 s[56:57], s[52:53], s[56:57]             // in0 && in1
_v_add_lshl_u32 v163, v2, v4, 0x1                  // scaleToBpe: accumulate d0 lower and *= bpe into Cin addr
v_cndmask_b32 v163, -1, v163, s[56:57]             // LDC clip if OOB. offset
_v_add_lshl_u32 v162, v3, v4, 0x1                  // scaleToBpe: accumulate d0 lower and *= bpe into Cin addr
v_cndmask_b32 v162, -1, v162, s[56:57]             // LDD clip if OOB. offset
/* (d1,vc1,d0,vc0)=(6,1,0,0) */
_v_add_co_u32 v1, vcc, v1, 1                       // coord1.1: coord1Vgpr += d1*sg1*VW + vc1

/* Fix for UseInitialStridesCD, emitAddressSetupCode */
_v_add_u32 v2, v2, s[sgprStrideC1J]                // ROWINC- Move cinRowPtr to next row
_v_add_u32 v3, v3, s[sgprStrideD1J]                // Move coutRowPtr to next row
v_cmp_lt_u32 s[52:53], v0, s[sgprSizeI]            // coord0 < size0
v_cmp_lt_u32 s[56:57], v1, s[sgprSizeJ]            // coord1 < size1
s_and_b64 s[56:57], s[52:53], s[56:57]             // in0 && in1
_v_add_lshl_u32 v167, v2, v0, 0x1                  // scaleToBpe: accumulate d0 lower and *= bpe into Cin addr
v_cndmask_b32 v167, -1, v167, s[56:57]             // LDC clip if OOB. offset
_v_add_lshl_u32 v166, v3, v0, 0x1                  // scaleToBpe: accumulate d0 lower and *= bpe into Cin addr
v_cndmask_b32 v166, -1, v166, s[56:57]             // LDD clip if OOB. offset
/* (d1,vc1,d0,vc0)=(6,1,1,0) */
_v_add_co_u32 v4, vcc, v0, 64                      // coord0.1: coord0 += d0*sg0*VW + vc0
v_cmp_lt_u32 s[52:53], v4, s[sgprSizeI]            // coord0 < size0
v_cmp_lt_u32 s[56:57], v1, s[sgprSizeJ]            // coord1 < size1
s_and_b64 s[56:57], s[52:53], s[56:57]             // in0 && in1
_v_add_lshl_u32 v171, v2, v4, 0x1                  // scaleToBpe: accumulate d0 lower and *= bpe into Cin addr
v_cndmask_b32 v171, -1, v171, s[56:57]             // LDC clip if OOB. offset
_v_add_lshl_u32 v170, v3, v4, 0x1                  // scaleToBpe: accumulate d0 lower and *= bpe into Cin addr
v_cndmask_b32 v170, -1, v170, s[56:57]             // LDD clip if OOB. offset
/* (d1,vc1,d0,vc0)=(6,1,2,0) */
s_mov_b32 s52, 128                                 // coordOffset0 d0=2 vc0=0
_v_add_co_u32 v4, vcc, v0, s52                     // coord0.2: coord0 += d0*sg0*VW + vc0
v_cmp_lt_u32 s[52:53], v4, s[sgprSizeI]            // coord0 < size0
v_cmp_lt_u32 s[56:57], v1, s[sgprSizeJ]            // coord1 < size1
s_and_b64 s[56:57], s[52:53], s[56:57]             // in0 && in1
_v_add_lshl_u32 v178, v2, v4, 0x1                  // scaleToBpe: accumulate d0 lower and *= bpe into Cin addr
v_cndmask_b32 v178, -1, v178, s[56:57]             // LDC clip if OOB. offset
_v_add_lshl_u32 v177, v3, v4, 0x1                  // scaleToBpe: accumulate d0 lower and *= bpe into Cin addr
v_cndmask_b32 v177, -1, v177, s[56:57]             // LDD clip if OOB. offset
/* (d1,vc1,d0,vc0)=(6,1,3,0) */
s_mov_b32 s52, 192                                 // coordOffset0 d0=3 vc0=0
_v_add_co_u32 v4, vcc, v0, s52                     // coord0.2: coord0 += d0*sg0*VW + vc0
v_cmp_lt_u32 s[52:53], v4, s[sgprSizeI]            // coord0 < size0
v_cmp_lt_u32 s[56:57], v1, s[sgprSizeJ]            // coord1 < size1
s_and_b64 s[56:57], s[52:53], s[56:57]             // in0 && in1
_v_add_lshl_u32 v182, v2, v4, 0x1                  // scaleToBpe: accumulate d0 lower and *= bpe into Cin addr
v_cndmask_b32 v182, -1, v182, s[56:57]             // LDC clip if OOB. offset
_v_add_lshl_u32 v181, v3, v4, 0x1                  // scaleToBpe: accumulate d0 lower and *= bpe into Cin addr
v_cndmask_b32 v181, -1, v181, s[56:57]             // LDD clip if OOB. offset
/* (d1,vc1,d0,vc0)=(6,2,0,0) */
_v_add_co_u32 v1, vcc, v1, 1                       // coord1.1: coord1Vgpr += d1*sg1*VW + vc1

/* Fix for UseInitialStridesCD, emitAddressSetupCode */
_v_add_u32 v2, v2, s[sgprStrideC1J]                // ROWINC- Move cinRowPtr to next row
_v_add_u32 v3, v3, s[sgprStrideD1J]                // Move coutRowPtr to next row
	;; [unrolled: 42-line block ×3, first 2 shown]
v_cmp_lt_u32 s[52:53], v0, s[sgprSizeI]            // coord0 < size0
v_cmp_lt_u32 s[56:57], v1, s[sgprSizeJ]            // coord1 < size1
s_and_b64 s[56:57], s[52:53], s[56:57]             // in0 && in1
_v_add_lshl_u32 v202, v2, v0, 0x1                  // scaleToBpe: accumulate d0 lower and *= bpe into Cin addr
v_cndmask_b32 v202, -1, v202, s[56:57]             // LDC clip if OOB. offset
_v_add_lshl_u32 v201, v3, v0, 0x1                  // scaleToBpe: accumulate d0 lower and *= bpe into Cin addr
v_cndmask_b32 v201, -1, v201, s[56:57]             // LDD clip if OOB. offset
/* (d1,vc1,d0,vc0)=(6,3,1,0) */
_v_add_co_u32 v4, vcc, v0, 64                      // coord0.1: coord0 += d0*sg0*VW + vc0
v_cmp_lt_u32 s[52:53], v4, s[sgprSizeI]            // coord0 < size0
v_cmp_lt_u32 s[56:57], v1, s[sgprSizeJ]            // coord1 < size1
s_and_b64 s[56:57], s[52:53], s[56:57]             // in0 && in1
_v_add_lshl_u32 v206, v2, v4, 0x1                  // scaleToBpe: accumulate d0 lower and *= bpe into Cin addr
v_cndmask_b32 v206, -1, v206, s[56:57]             // LDC clip if OOB. offset
_v_add_lshl_u32 v205, v3, v4, 0x1                  // scaleToBpe: accumulate d0 lower and *= bpe into Cin addr
v_cndmask_b32 v205, -1, v205, s[56:57]             // LDD clip if OOB. offset
/* (d1,vc1,d0,vc0)=(6,3,2,0) */
s_mov_b32 s52, 128                                 // coordOffset0 d0=2 vc0=0
_v_add_co_u32 v4, vcc, v0, s52                     // coord0.2: coord0 += d0*sg0*VW + vc0
v_cmp_lt_u32 s[52:53], v4, s[sgprSizeI]            // coord0 < size0
v_cmp_lt_u32 s[56:57], v1, s[sgprSizeJ]            // coord1 < size1
s_and_b64 s[56:57], s[52:53], s[56:57]             // in0 && in1
_v_add_lshl_u32 v210, v2, v4, 0x1                  // scaleToBpe: accumulate d0 lower and *= bpe into Cin addr
v_cndmask_b32 v210, -1, v210, s[56:57]             // LDC clip if OOB. offset
_v_add_lshl_u32 v209, v3, v4, 0x1                  // scaleToBpe: accumulate d0 lower and *= bpe into Cin addr
v_cndmask_b32 v209, -1, v209, s[56:57]             // LDD clip if OOB. offset
/* (d1,vc1,d0,vc0)=(6,3,3,0) */
s_mov_b32 s52, 192                                 // coordOffset0 d0=3 vc0=0
_v_add_co_u32 v4, vcc, v0, s52                     // coord0.2: coord0 += d0*sg0*VW + vc0
v_cmp_lt_u32 s[52:53], v4, s[sgprSizeI]            // coord0 < size0
v_cmp_lt_u32 s[56:57], v1, s[sgprSizeJ]            // coord1 < size1
s_and_b64 s[56:57], s[52:53], s[56:57]             // in0 && in1
_v_add_lshl_u32 v214, v2, v4, 0x1                  // scaleToBpe: accumulate d0 lower and *= bpe into Cin addr
v_cndmask_b32 v214, -1, v214, s[56:57]             // LDC clip if OOB. offset
_v_add_lshl_u32 v213, v3, v4, 0x1                  // scaleToBpe: accumulate d0 lower and *= bpe into Cin addr
v_cndmask_b32 v213, -1, v213, s[56:57]             // LDD clip if OOB. offset
/* (d1,vc1,d0,vc0)=(7,0,0,0) */
_v_add_co_u32 v1, vcc, v1, 5                       // coord1.1: coord1Vgpr += d1*sg1*VW + vc1

/* Fix for UseInitialStridesCD, emitAddressSetupCode */
s_mul_i32 s52, s[sgprStrideC1J], 5                 // scale stride
_v_add_u32 v2, v2, s52                             // ROWINC- Move cinRowPtr to next row
s_mul_i32 s52, s[sgprStrideD1J], 5                 // scale stride
_v_add_u32 v3, v3, s52                             // Move coutRowPtr to next row
v_cmp_lt_u32 s[52:53], v0, s[sgprSizeI]            // coord0 < size0
v_cmp_lt_u32 s[56:57], v1, s[sgprSizeJ]            // coord1 < size1
s_and_b64 s[56:57], s[52:53], s[56:57]             // in0 && in1
_v_add_lshl_u32 v218, v2, v0, 0x1                  // scaleToBpe: accumulate d0 lower and *= bpe into Cin addr
v_cndmask_b32 v218, -1, v218, s[56:57]             // LDC clip if OOB. offset
_v_add_lshl_u32 v217, v3, v0, 0x1                  // scaleToBpe: accumulate d0 lower and *= bpe into Cin addr
v_cndmask_b32 v217, -1, v217, s[56:57]             // LDD clip if OOB. offset
/* (d1,vc1,d0,vc0)=(7,0,1,0) */
_v_add_co_u32 v4, vcc, v0, 64                      // coord0.1: coord0 += d0*sg0*VW + vc0
v_cmp_lt_u32 s[52:53], v4, s[sgprSizeI]            // coord0 < size0
v_cmp_lt_u32 s[56:57], v1, s[sgprSizeJ]            // coord1 < size1
s_and_b64 s[56:57], s[52:53], s[56:57]             // in0 && in1
_v_add_lshl_u32 v222, v2, v4, 0x1                  // scaleToBpe: accumulate d0 lower and *= bpe into Cin addr
v_cndmask_b32 v222, -1, v222, s[56:57]             // LDC clip if OOB. offset
_v_add_lshl_u32 v221, v3, v4, 0x1                  // scaleToBpe: accumulate d0 lower and *= bpe into Cin addr
v_cndmask_b32 v221, -1, v221, s[56:57]             // LDD clip if OOB. offset
/* (d1,vc1,d0,vc0)=(7,0,2,0) */
s_mov_b32 s52, 128                                 // coordOffset0 d0=2 vc0=0
_v_add_co_u32 v4, vcc, v0, s52                     // coord0.2: coord0 += d0*sg0*VW + vc0
v_cmp_lt_u32 s[52:53], v4, s[sgprSizeI]            // coord0 < size0
v_cmp_lt_u32 s[56:57], v1, s[sgprSizeJ]            // coord1 < size1
s_and_b64 s[56:57], s[52:53], s[56:57]             // in0 && in1
_v_add_lshl_u32 v226, v2, v4, 0x1                  // scaleToBpe: accumulate d0 lower and *= bpe into Cin addr
v_cndmask_b32 v226, -1, v226, s[56:57]             // LDC clip if OOB. offset
_v_add_lshl_u32 v225, v3, v4, 0x1                  // scaleToBpe: accumulate d0 lower and *= bpe into Cin addr
v_cndmask_b32 v225, -1, v225, s[56:57]             // LDD clip if OOB. offset
/* (d1,vc1,d0,vc0)=(7,0,3,0) */
s_mov_b32 s52, 192                                 // coordOffset0 d0=3 vc0=0
_v_add_co_u32 v4, vcc, v0, s52                     // coord0.2: coord0 += d0*sg0*VW + vc0
v_cmp_lt_u32 s[52:53], v4, s[sgprSizeI]            // coord0 < size0
v_cmp_lt_u32 s[56:57], v1, s[sgprSizeJ]            // coord1 < size1
s_and_b64 s[56:57], s[52:53], s[56:57]             // in0 && in1
_v_add_lshl_u32 v230, v2, v4, 0x1                  // scaleToBpe: accumulate d0 lower and *= bpe into Cin addr
v_cndmask_b32 v230, -1, v230, s[56:57]             // LDC clip if OOB. offset
_v_add_lshl_u32 v229, v3, v4, 0x1                  // scaleToBpe: accumulate d0 lower and *= bpe into Cin addr
v_cndmask_b32 v229, -1, v229, s[56:57]             // LDD clip if OOB. offset
/* (d1,vc1,d0,vc0)=(7,1,0,0) */
_v_add_co_u32 v1, vcc, v1, 1                       // coord1.1: coord1Vgpr += d1*sg1*VW + vc1

/* Fix for UseInitialStridesCD, emitAddressSetupCode */
_v_add_u32 v2, v2, s[sgprStrideC1J]                // ROWINC- Move cinRowPtr to next row
_v_add_u32 v3, v3, s[sgprStrideD1J]                // Move coutRowPtr to next row
v_cmp_lt_u32 s[52:53], v0, s[sgprSizeI]            // coord0 < size0
v_cmp_lt_u32 s[56:57], v1, s[sgprSizeJ]            // coord1 < size1
s_and_b64 s[56:57], s[52:53], s[56:57]             // in0 && in1
_v_add_lshl_u32 v234, v2, v0, 0x1                  // scaleToBpe: accumulate d0 lower and *= bpe into Cin addr
v_cndmask_b32 v234, -1, v234, s[56:57]             // LDC clip if OOB. offset
_v_add_lshl_u32 v233, v3, v0, 0x1                  // scaleToBpe: accumulate d0 lower and *= bpe into Cin addr
v_cndmask_b32 v233, -1, v233, s[56:57]             // LDD clip if OOB. offset
/* (d1,vc1,d0,vc0)=(7,1,1,0) */
_v_add_co_u32 v4, vcc, v0, 64                      // coord0.1: coord0 += d0*sg0*VW + vc0
v_cmp_lt_u32 s[52:53], v4, s[sgprSizeI]            // coord0 < size0
v_cmp_lt_u32 s[56:57], v1, s[sgprSizeJ]            // coord1 < size1
s_and_b64 s[56:57], s[52:53], s[56:57]             // in0 && in1
_v_add_lshl_u32 v238, v2, v4, 0x1                  // scaleToBpe: accumulate d0 lower and *= bpe into Cin addr
v_cndmask_b32 v238, -1, v238, s[56:57]             // LDC clip if OOB. offset
_v_add_lshl_u32 v237, v3, v4, 0x1                  // scaleToBpe: accumulate d0 lower and *= bpe into Cin addr
v_cndmask_b32 v237, -1, v237, s[56:57]             // LDD clip if OOB. offset
/* (d1,vc1,d0,vc0)=(7,1,2,0) */
s_mov_b32 s52, 128                                 // coordOffset0 d0=2 vc0=0
_v_add_co_u32 v4, vcc, v0, s52                     // coord0.2: coord0 += d0*sg0*VW + vc0
v_cmp_lt_u32 s[52:53], v4, s[sgprSizeI]            // coord0 < size0
v_cmp_lt_u32 s[56:57], v1, s[sgprSizeJ]            // coord1 < size1
s_and_b64 s[56:57], s[52:53], s[56:57]             // in0 && in1
_v_add_lshl_u32 v242, v2, v4, 0x1                  // scaleToBpe: accumulate d0 lower and *= bpe into Cin addr
v_cndmask_b32 v242, -1, v242, s[56:57]             // LDC clip if OOB. offset
_v_add_lshl_u32 v241, v3, v4, 0x1                  // scaleToBpe: accumulate d0 lower and *= bpe into Cin addr
v_cndmask_b32 v241, -1, v241, s[56:57]             // LDD clip if OOB. offset
/* (d1,vc1,d0,vc0)=(7,1,3,0) */
s_mov_b32 s52, 192                                 // coordOffset0 d0=3 vc0=0
_v_add_co_u32 v4, vcc, v0, s52                     // coord0.2: coord0 += d0*sg0*VW + vc0
v_cmp_lt_u32 s[52:53], v4, s[sgprSizeI]            // coord0 < size0
v_cmp_lt_u32 s[56:57], v1, s[sgprSizeJ]            // coord1 < size1
s_and_b64 s[56:57], s[52:53], s[56:57]             // in0 && in1
_v_add_lshl_u32 v246, v2, v4, 0x1                  // scaleToBpe: accumulate d0 lower and *= bpe into Cin addr
v_cndmask_b32 v246, -1, v246, s[56:57]             // LDC clip if OOB. offset
_v_add_lshl_u32 v245, v3, v4, 0x1                  // scaleToBpe: accumulate d0 lower and *= bpe into Cin addr
v_cndmask_b32 v245, -1, v245, s[56:57]             // LDD clip if OOB. offset
_buffer_load_d16_b16 v8, v7, s[sgprSrdC:sgprSrdC+3], 0, offen offset:0,  sc0 sc1 // load C for beta calc
_buffer_load_d16_b16 v12, v11, s[sgprSrdC:sgprSrdC+3], 0, offen offset:0,  sc0 sc1 // load C for beta calc
	;; [unrolled: 1-line block ×60, first 2 shown]
s_sleep 3 // optimization: sync and wait
s_barrier
v_accvgpr_read_b32 v[vgprValuC+9], acc15 // copy acc to vreg[60]
v_accvgpr_read_b32 v[vgprValuC+13], acc31 // copy acc to vreg[61]
v_accvgpr_read_b32 v[vgprValuC+17], acc47 // copy acc to vreg[62]
v_accvgpr_read_b32 v[vgprValuC+21], acc63 // copy acc to vreg[63]
v_accvgpr_read_b32 v[vgprValuC+25], acc64 // copy acc to vreg[64]
v_accvgpr_read_b32 v[vgprValuC+29], acc80 // copy acc to vreg[65]
v_accvgpr_read_b32 v[vgprValuC+33], acc96 // copy acc to vreg[66]
v_accvgpr_read_b32 v[vgprValuC+37], acc112 // copy acc to vreg[67]
v_accvgpr_read_b32 v[vgprValuC+41], acc65 // copy acc to vreg[68]
v_accvgpr_read_b32 v[vgprValuC+45], acc81 // copy acc to vreg[69]
v_accvgpr_read_b32 v[vgprValuC+49], acc97 // copy acc to vreg[70]
v_accvgpr_read_b32 v[vgprValuC+53], acc113 // copy acc to vreg[71]
v_accvgpr_read_b32 v[vgprValuC+57], acc66 // copy acc to vreg[72]
v_accvgpr_read_b32 v[vgprValuC+61], acc82 // copy acc to vreg[73]
v_accvgpr_read_b32 v[vgprValuC+65], acc98 // copy acc to vreg[74]
v_accvgpr_read_b32 v[vgprValuC+69], acc114 // copy acc to vreg[75]
v_accvgpr_read_b32 v[vgprValuC+73], acc67 // copy acc to vreg[76]
v_accvgpr_read_b32 v[vgprValuC+77], acc83 // copy acc to vreg[77]
v_accvgpr_read_b32 v[vgprValuC+81], acc99 // copy acc to vreg[78]
v_accvgpr_read_b32 v[vgprValuC+85], acc115 // copy acc to vreg[79]
v_accvgpr_read_b32 v[vgprValuC+89], acc68 // copy acc to vreg[80]
v_accvgpr_read_b32 v[vgprValuC+93], acc84 // copy acc to vreg[81]
v_accvgpr_read_b32 v[vgprValuC+97], acc100 // copy acc to vreg[82]
v_accvgpr_read_b32 v[vgprValuC+101], acc116 // copy acc to vreg[83]
v_accvgpr_read_b32 v[vgprValuC+105], acc69 // copy acc to vreg[84]
v_accvgpr_read_b32 v[vgprValuC+109], acc85 // copy acc to vreg[85]
v_accvgpr_read_b32 v[vgprValuC+113], acc101 // copy acc to vreg[86]
v_accvgpr_read_b32 v[vgprValuC+117], acc117 // copy acc to vreg[87]
v_accvgpr_read_b32 v[vgprValuC+121], acc70 // copy acc to vreg[88]
v_accvgpr_read_b32 v[vgprValuC+125], acc86 // copy acc to vreg[89]
v_accvgpr_read_b32 v[vgprValuC+129], acc102 // copy acc to vreg[90]
v_accvgpr_read_b32 v[vgprValuC+133], acc118 // copy acc to vreg[91]
v_accvgpr_read_b32 v[vgprValuC+137], acc71 // copy acc to vreg[92]
v_accvgpr_read_b32 v[vgprValuC+141], acc87 // copy acc to vreg[93]
v_accvgpr_read_b32 v[vgprValuC+145], acc103 // copy acc to vreg[94]
v_accvgpr_read_b32 v[vgprValuC+149], acc119 // copy acc to vreg[95]
v_accvgpr_read_b32 v[vgprValuC+153], acc72 // copy acc to vreg[96]
v_accvgpr_read_b32 v[vgprValuC+157], acc88 // copy acc to vreg[97]
v_accvgpr_read_b32 v[vgprValuC+161], acc104 // copy acc to vreg[98]
v_accvgpr_read_b32 v[vgprValuC+165], acc120 // copy acc to vreg[99]
v_accvgpr_read_b32 v[vgprValuC+169], acc73 // copy acc to vreg[100]
v_accvgpr_read_b32 v[vgprValuC+176], acc89 // copy acc to vreg[101]
v_accvgpr_read_b32 v[vgprValuC+180], acc105 // copy acc to vreg[102]
v_accvgpr_read_b32 v[vgprValuC+184], acc121 // copy acc to vreg[103]
v_accvgpr_read_b32 v[vgprValuC+188], acc74 // copy acc to vreg[104]
v_accvgpr_read_b32 v[vgprValuC+192], acc90 // copy acc to vreg[105]
v_accvgpr_read_b32 v[vgprValuC+196], acc106 // copy acc to vreg[106]
v_accvgpr_read_b32 v[vgprValuC+200], acc122 // copy acc to vreg[107]
v_accvgpr_read_b32 v[vgprValuC+204], acc75 // copy acc to vreg[108]
v_accvgpr_read_b32 v[vgprValuC+208], acc91 // copy acc to vreg[109]
v_accvgpr_read_b32 v[vgprValuC+212], acc107 // copy acc to vreg[110]
v_accvgpr_read_b32 v[vgprValuC+216], acc123 // copy acc to vreg[111]
v_accvgpr_read_b32 v[vgprValuC+220], acc76 // copy acc to vreg[112]
v_accvgpr_read_b32 v[vgprValuC+224], acc92 // copy acc to vreg[113]
v_accvgpr_read_b32 v[vgprValuC+228], acc108 // copy acc to vreg[114]
v_accvgpr_read_b32 v[vgprValuC+232], acc124 // copy acc to vreg[115]
v_accvgpr_read_b32 v[vgprValuC+236], acc77 // copy acc to vreg[116]
v_accvgpr_read_b32 v[vgprValuC+240], acc93 // copy acc to vreg[117]
v_accvgpr_read_b32 v[vgprValuC+244], acc109 // copy acc to vreg[118]
v_accvgpr_read_b32 v[vgprValuC+248], acc125 // copy acc to vreg[119]
s_nop 1                                            // 2 wait states required before reading vgpr

/* rC *= alpha batchElements=[(3, 0, 3, 0), (3, 1, 3, 0), (3, 2, 3, 0), (3, 3, 3, 0), (4, 0, 0, 0), (4, 1, 0, 0), (4, 2, 0, 0), (4, 3, 0, 0), (4, 0, 1, 0), (4, 1, 1, 0), (4, 2, 1, 0), (4, 3, 1, 0), (4, 0, 2, 0), (4, 1, 2, 0), (4, 2, 2, 0), (4, 3, 2, 0), (4, 0, 3, 0), (4, 1, 3, 0), (4, 2, 3, 0), (4, 3, 3, 0), (5, 0, 0, 0), (5, 1, 0, 0), (5, 2, 0, 0), (5, 3, 0, 0), (5, 0, 1, 0), (5, 1, 1, 0), (5, 2, 1, 0), (5, 3, 1, 0), (5, 0, 2, 0), (5, 1, 2, 0), (5, 2, 2, 0), (5, 3, 2, 0), (5, 0, 3, 0), (5, 1, 3, 0), (5, 2, 3, 0), (5, 3, 3, 0), (6, 0, 0, 0), (6, 1, 0, 0), (6, 2, 0, 0), (6, 3, 0, 0), (6, 0, 1, 0), (6, 1, 1, 0), (6, 2, 1, 0), (6, 3, 1, 0), (6, 0, 2, 0), (6, 1, 2, 0), (6, 2, 2, 0), (6, 3, 2, 0), (6, 0, 3, 0), (6, 1, 3, 0), (6, 2, 3, 0), (6, 3, 3, 0), (7, 0, 0, 0), (7, 1, 0, 0), (7, 2, 0, 0), (7, 3, 0, 0), (7, 0, 1, 0), (7, 1, 1, 0), (7, 2, 1, 0), (7, 3, 1, 0)] */
v_mul_f32 v[vgprValuC+9], s[sgprAlpha], v[vgprValuC+9] // *= alpha
v_mul_f32 v[vgprValuC+13], s[sgprAlpha], v[vgprValuC+13] // *= alpha
	;; [unrolled: 1-line block ×60, first 2 shown]
s_waitcnt vmcnt(0)                                 // wait C

/* apply mask, calc new C and issue writes */
v_fma_mix_f32 v[vgprValuC+9], s[sgprBeta], v8, v[vgprValuC+9], op_sel:[0,0,0] op_sel_hi:[0,1,0] // //C*=beta
v_cvt_f16_f32 v[vgprValuC+9], v[vgprValuC+9]       // convert C to fp16
v_fma_mix_f32 v[vgprValuC+13], s[sgprBeta], v12, v[vgprValuC+13], op_sel:[0,0,0] op_sel_hi:[0,1,0] // //C*=beta
v_cvt_f16_f32 v[vgprValuC+13], v[vgprValuC+13]     // convert C to fp16
v_fma_mix_f32 v[vgprValuC+17], s[sgprBeta], v16, v[vgprValuC+17], op_sel:[0,0,0] op_sel_hi:[0,1,0] // //C*=beta
v_cvt_f16_f32 v[vgprValuC+17], v[vgprValuC+17]     // convert C to fp16
	;; [unrolled: 2-line block ×22, first 2 shown]
v_fma_mix_f32 v[vgprValuC+101], s[sgprBeta], v100, v[vgprValuC+101], op_sel:[0,0,0] op_sel_hi:[0,1,0] // //C*=beta
v_cvt_f16_f32 v[vgprValuC+101], v[vgprValuC+101]   // convert C to fp16
v_fma_mix_f32 v[vgprValuC+105], s[sgprBeta], v104, v[vgprValuC+105], op_sel:[0,0,0] op_sel_hi:[0,1,0] // //C*=beta
v_cvt_f16_f32 v[vgprValuC+105], v[vgprValuC+105]   // convert C to fp16
	;; [unrolled: 2-line block ×37, first 2 shown]
_buffer_store_b16 v9, v6, s[sgprSrdD:sgprSrdD+3], 0, offen, offset:0,  sc0 sc1 // store D
_buffer_store_b16 v13, v10, s[sgprSrdD:sgprSrdD+3], 0, offen, offset:0,  sc0 sc1 // store D
_buffer_store_b16 v17, v14, s[sgprSrdD:sgprSrdD+3], 0, offen, offset:0,  sc0 sc1 // store D
_buffer_store_b16 v21, v18, s[sgprSrdD:sgprSrdD+3], 0, offen, offset:0,  sc0 sc1 // store D
_buffer_store_b16 v25, v22, s[sgprSrdD:sgprSrdD+3], 0, offen, offset:0,  sc0 sc1 // store D
_buffer_store_b16 v29, v26, s[sgprSrdD:sgprSrdD+3], 0, offen, offset:0,  sc0 sc1 // store D
_buffer_store_b16 v33, v30, s[sgprSrdD:sgprSrdD+3], 0, offen, offset:0,  sc0 sc1 // store D
_buffer_store_b16 v37, v34, s[sgprSrdD:sgprSrdD+3], 0, offen, offset:0,  sc0 sc1 // store D
_buffer_store_b16 v41, v38, s[sgprSrdD:sgprSrdD+3], 0, offen, offset:0,  sc0 sc1 // store D
_buffer_store_b16 v45, v42, s[sgprSrdD:sgprSrdD+3], 0, offen, offset:0,  sc0 sc1 // store D
_buffer_store_b16 v49, v46, s[sgprSrdD:sgprSrdD+3], 0, offen, offset:0,  sc0 sc1 // store D
_buffer_store_b16 v53, v50, s[sgprSrdD:sgprSrdD+3], 0, offen, offset:0,  sc0 sc1 // store D
_buffer_store_b16 v57, v54, s[sgprSrdD:sgprSrdD+3], 0, offen, offset:0,  sc0 sc1 // store D
_buffer_store_b16 v61, v58, s[sgprSrdD:sgprSrdD+3], 0, offen, offset:0,  sc0 sc1 // store D
_buffer_store_b16 v65, v62, s[sgprSrdD:sgprSrdD+3], 0, offen, offset:0,  sc0 sc1 // store D
_buffer_store_b16 v69, v66, s[sgprSrdD:sgprSrdD+3], 0, offen, offset:0,  sc0 sc1 // store D
_buffer_store_b16 v73, v70, s[sgprSrdD:sgprSrdD+3], 0, offen, offset:0,  sc0 sc1 // store D
_buffer_store_b16 v77, v74, s[sgprSrdD:sgprSrdD+3], 0, offen, offset:0,  sc0 sc1 // store D
_buffer_store_b16 v81, v78, s[sgprSrdD:sgprSrdD+3], 0, offen, offset:0,  sc0 sc1 // store D
_buffer_store_b16 v85, v82, s[sgprSrdD:sgprSrdD+3], 0, offen, offset:0,  sc0 sc1 // store D
_buffer_store_b16 v89, v86, s[sgprSrdD:sgprSrdD+3], 0, offen, offset:0,  sc0 sc1 // store D
_buffer_store_b16 v93, v90, s[sgprSrdD:sgprSrdD+3], 0, offen, offset:0,  sc0 sc1 // store D
_buffer_store_b16 v97, v94, s[sgprSrdD:sgprSrdD+3], 0, offen, offset:0,  sc0 sc1 // store D
_buffer_store_b16 v101, v98, s[sgprSrdD:sgprSrdD+3], 0, offen, offset:0,  sc0 sc1 // store D
_buffer_store_b16 v105, v102, s[sgprSrdD:sgprSrdD+3], 0, offen, offset:0,  sc0 sc1 // store D
_buffer_store_b16 v109, v106, s[sgprSrdD:sgprSrdD+3], 0, offen, offset:0,  sc0 sc1 // store D
_buffer_store_b16 v113, v110, s[sgprSrdD:sgprSrdD+3], 0, offen, offset:0,  sc0 sc1 // store D
_buffer_store_b16 v117, v114, s[sgprSrdD:sgprSrdD+3], 0, offen, offset:0,  sc0 sc1 // store D
_buffer_store_b16 v121, v118, s[sgprSrdD:sgprSrdD+3], 0, offen, offset:0,  sc0 sc1 // store D
_buffer_store_b16 v125, v122, s[sgprSrdD:sgprSrdD+3], 0, offen, offset:0,  sc0 sc1 // store D
_buffer_store_b16 v129, v126, s[sgprSrdD:sgprSrdD+3], 0, offen, offset:0,  sc0 sc1 // store D
_buffer_store_b16 v133, v130, s[sgprSrdD:sgprSrdD+3], 0, offen, offset:0,  sc0 sc1 // store D
_buffer_store_b16 v137, v134, s[sgprSrdD:sgprSrdD+3], 0, offen, offset:0,  sc0 sc1 // store D
_buffer_store_b16 v141, v138, s[sgprSrdD:sgprSrdD+3], 0, offen, offset:0,  sc0 sc1 // store D
_buffer_store_b16 v145, v142, s[sgprSrdD:sgprSrdD+3], 0, offen, offset:0,  sc0 sc1 // store D
_buffer_store_b16 v149, v146, s[sgprSrdD:sgprSrdD+3], 0, offen, offset:0,  sc0 sc1 // store D
_buffer_store_b16 v153, v150, s[sgprSrdD:sgprSrdD+3], 0, offen, offset:0,  sc0 sc1 // store D
_buffer_store_b16 v157, v154, s[sgprSrdD:sgprSrdD+3], 0, offen, offset:0,  sc0 sc1 // store D
_buffer_store_b16 v161, v158, s[sgprSrdD:sgprSrdD+3], 0, offen, offset:0,  sc0 sc1 // store D
_buffer_store_b16 v165, v162, s[sgprSrdD:sgprSrdD+3], 0, offen, offset:0,  sc0 sc1 // store D
_buffer_store_b16 v169, v166, s[sgprSrdD:sgprSrdD+3], 0, offen, offset:0,  sc0 sc1 // store D
_buffer_store_b16 v176, v170, s[sgprSrdD:sgprSrdD+3], 0, offen, offset:0,  sc0 sc1 // store D
_buffer_store_b16 v180, v177, s[sgprSrdD:sgprSrdD+3], 0, offen, offset:0,  sc0 sc1 // store D
_buffer_store_b16 v184, v181, s[sgprSrdD:sgprSrdD+3], 0, offen, offset:0,  sc0 sc1 // store D
_buffer_store_b16 v188, v185, s[sgprSrdD:sgprSrdD+3], 0, offen, offset:0,  sc0 sc1 // store D
_buffer_store_b16 v192, v189, s[sgprSrdD:sgprSrdD+3], 0, offen, offset:0,  sc0 sc1 // store D
_buffer_store_b16 v196, v193, s[sgprSrdD:sgprSrdD+3], 0, offen, offset:0,  sc0 sc1 // store D
_buffer_store_b16 v200, v197, s[sgprSrdD:sgprSrdD+3], 0, offen, offset:0,  sc0 sc1 // store D
_buffer_store_b16 v204, v201, s[sgprSrdD:sgprSrdD+3], 0, offen, offset:0,  sc0 sc1 // store D
_buffer_store_b16 v208, v205, s[sgprSrdD:sgprSrdD+3], 0, offen, offset:0,  sc0 sc1 // store D
_buffer_store_b16 v212, v209, s[sgprSrdD:sgprSrdD+3], 0, offen, offset:0,  sc0 sc1 // store D
_buffer_store_b16 v216, v213, s[sgprSrdD:sgprSrdD+3], 0, offen, offset:0,  sc0 sc1 // store D
_buffer_store_b16 v220, v217, s[sgprSrdD:sgprSrdD+3], 0, offen, offset:0,  sc0 sc1 // store D
_buffer_store_b16 v224, v221, s[sgprSrdD:sgprSrdD+3], 0, offen, offset:0,  sc0 sc1 // store D
_buffer_store_b16 v228, v225, s[sgprSrdD:sgprSrdD+3], 0, offen, offset:0,  sc0 sc1 // store D
_buffer_store_b16 v232, v229, s[sgprSrdD:sgprSrdD+3], 0, offen, offset:0,  sc0 sc1 // store D
_buffer_store_b16 v236, v233, s[sgprSrdD:sgprSrdD+3], 0, offen, offset:0,  sc0 sc1 // store D
_buffer_store_b16 v240, v237, s[sgprSrdD:sgprSrdD+3], 0, offen, offset:0,  sc0 sc1 // store D
_buffer_store_b16 v244, v241, s[sgprSrdD:sgprSrdD+3], 0, offen, offset:0,  sc0 sc1 // store D
_buffer_store_b16 v248, v245, s[sgprSrdD:sgprSrdD+3], 0, offen, offset:0,  sc0 sc1 // store D
s_nop 0                                            // 1 wait state required when next inst writes vgprs held by previous dwordx4 store inst
/* optSingleColVgpr=0 optSharedColVgpr=0 optSGPRUsage=BufferLoad_Edge_Mask optSrdIncForRow=0 */
s_sleep 3 // optimization: sync and wait
s_barrier

/******************************************/
/* Global Write Alpha Beta Edge Batch #2 (d1,d0,vc1,vc0) = */
/*    (7,0,2,0:vw1); (7,1,2,0:vw1); (7,2,2,0:vw1); (7,3,2,0:vw1); (7,0,3,0:vw1); (7,1,3,0:vw1); (7,2,3,0:vw1); (7,3,3,0:vw1); (8,0,0,0:vw1); (8,1,0,0:vw1); (8,2,0,0:vw1); (8,3,0,0:vw1); (8,0,1,0:vw1); (8,1,1,0:vw1); (8,2,1,0:vw1); (8,3,1,0:vw1); (8,0,2,0:vw1); (8,1,2,0:vw1); (8,2,2,0:vw1); (8,3,2,0:vw1); (8,0,3,0:vw1); (8,1,3,0:vw1); (8,2,3,0:vw1); (8,3,3,0:vw1); (9,0,0,0:vw1); (9,1,0,0:vw1); (9,2,0,0:vw1); (9,3,0,0:vw1); (9,0,1,0:vw1); (9,1,1,0:vw1); (9,2,1,0:vw1); (9,3,1,0:vw1); (9,0,2,0:vw1); (9,1,2,0:vw1); (9,2,2,0:vw1); (9,3,2,0:vw1); (9,0,3,0:vw1); (9,1,3,0:vw1); (9,2,3,0:vw1); (9,3,3,0:vw1); (10,0,0,0:vw1); (10,1,0,0:vw1); (10,2,0,0:vw1); (10,3,0,0:vw1); (10,0,1,0:vw1); (10,1,1,0:vw1); (10,2,1,0:vw1); (10,3,1,0:vw1); (10,0,2,0:vw1); (10,1,2,0:vw1); (10,2,2,0:vw1); (10,3,2,0:vw1); (10,0,3,0:vw1); (10,1,3,0:vw1); (10,2,3,0:vw1); (10,3,3,0:vw1); (11,0,0,0:vw1); (11,1,0,0:vw1); (11,2,0,0:vw1); (11,3,0,0:vw1) */
/******************************************/

/* calc coords, apply mask, and issue loads (if necessary) */
/* (d1,vc1,d0,vc0)=(7,2,0,0) */
_v_add_co_u32 v1, vcc, v1, 1                       // coord1.1: coord1Vgpr += d1*sg1*VW + vc1

/* Fix for UseInitialStridesCD, emitAddressSetupCode */
_v_add_u32 v2, v2, s[sgprStrideC1J]                // ROWINC- Move cinRowPtr to next row
_v_add_u32 v3, v3, s[sgprStrideD1J]                // Move coutRowPtr to next row
v_cmp_lt_u32 s[52:53], v0, s[sgprSizeI]            // coord0 < size0
v_cmp_lt_u32 s[56:57], v1, s[sgprSizeJ]            // coord1 < size1
s_and_b64 s[56:57], s[52:53], s[56:57]             // in0 && in1
_v_add_lshl_u32 v7, v2, v0, 0x1                    // scaleToBpe: accumulate d0 lower and *= bpe into Cin addr
v_cndmask_b32 v7, -1, v7, s[56:57]                 // LDC clip if OOB. offset
_v_add_lshl_u32 v6, v3, v0, 0x1                    // scaleToBpe: accumulate d0 lower and *= bpe into Cin addr
v_cndmask_b32 v6, -1, v6, s[56:57]                 // LDD clip if OOB. offset
/* (d1,vc1,d0,vc0)=(7,2,1,0) */
_v_add_co_u32 v4, vcc, v0, 64                      // coord0.1: coord0 += d0*sg0*VW + vc0
v_cmp_lt_u32 s[52:53], v4, s[sgprSizeI]            // coord0 < size0
v_cmp_lt_u32 s[56:57], v1, s[sgprSizeJ]            // coord1 < size1
s_and_b64 s[56:57], s[52:53], s[56:57]             // in0 && in1
_v_add_lshl_u32 v11, v2, v4, 0x1                   // scaleToBpe: accumulate d0 lower and *= bpe into Cin addr
v_cndmask_b32 v11, -1, v11, s[56:57]               // LDC clip if OOB. offset
_v_add_lshl_u32 v10, v3, v4, 0x1                   // scaleToBpe: accumulate d0 lower and *= bpe into Cin addr
v_cndmask_b32 v10, -1, v10, s[56:57]               // LDD clip if OOB. offset
/* (d1,vc1,d0,vc0)=(7,2,2,0) */
s_mov_b32 s52, 128                                 // coordOffset0 d0=2 vc0=0
_v_add_co_u32 v4, vcc, v0, s52                     // coord0.2: coord0 += d0*sg0*VW + vc0
v_cmp_lt_u32 s[52:53], v4, s[sgprSizeI]            // coord0 < size0
v_cmp_lt_u32 s[56:57], v1, s[sgprSizeJ]            // coord1 < size1
s_and_b64 s[56:57], s[52:53], s[56:57]             // in0 && in1
_v_add_lshl_u32 v15, v2, v4, 0x1                   // scaleToBpe: accumulate d0 lower and *= bpe into Cin addr
v_cndmask_b32 v15, -1, v15, s[56:57]               // LDC clip if OOB. offset
_v_add_lshl_u32 v14, v3, v4, 0x1                   // scaleToBpe: accumulate d0 lower and *= bpe into Cin addr
v_cndmask_b32 v14, -1, v14, s[56:57]               // LDD clip if OOB. offset
/* (d1,vc1,d0,vc0)=(7,2,3,0) */
s_mov_b32 s52, 192                                 // coordOffset0 d0=3 vc0=0
_v_add_co_u32 v4, vcc, v0, s52                     // coord0.2: coord0 += d0*sg0*VW + vc0
v_cmp_lt_u32 s[52:53], v4, s[sgprSizeI]            // coord0 < size0
v_cmp_lt_u32 s[56:57], v1, s[sgprSizeJ]            // coord1 < size1
s_and_b64 s[56:57], s[52:53], s[56:57]             // in0 && in1
_v_add_lshl_u32 v19, v2, v4, 0x1                   // scaleToBpe: accumulate d0 lower and *= bpe into Cin addr
v_cndmask_b32 v19, -1, v19, s[56:57]               // LDC clip if OOB. offset
_v_add_lshl_u32 v18, v3, v4, 0x1                   // scaleToBpe: accumulate d0 lower and *= bpe into Cin addr
v_cndmask_b32 v18, -1, v18, s[56:57]               // LDD clip if OOB. offset
/* (d1,vc1,d0,vc0)=(7,3,0,0) */
_v_add_co_u32 v1, vcc, v1, 1                       // coord1.1: coord1Vgpr += d1*sg1*VW + vc1

/* Fix for UseInitialStridesCD, emitAddressSetupCode */
_v_add_u32 v2, v2, s[sgprStrideC1J]                // ROWINC- Move cinRowPtr to next row
_v_add_u32 v3, v3, s[sgprStrideD1J]                // Move coutRowPtr to next row
v_cmp_lt_u32 s[52:53], v0, s[sgprSizeI]            // coord0 < size0
v_cmp_lt_u32 s[56:57], v1, s[sgprSizeJ]            // coord1 < size1
s_and_b64 s[56:57], s[52:53], s[56:57]             // in0 && in1
_v_add_lshl_u32 v23, v2, v0, 0x1                   // scaleToBpe: accumulate d0 lower and *= bpe into Cin addr
v_cndmask_b32 v23, -1, v23, s[56:57]               // LDC clip if OOB. offset
_v_add_lshl_u32 v22, v3, v0, 0x1                   // scaleToBpe: accumulate d0 lower and *= bpe into Cin addr
v_cndmask_b32 v22, -1, v22, s[56:57]               // LDD clip if OOB. offset
/* (d1,vc1,d0,vc0)=(7,3,1,0) */
_v_add_co_u32 v4, vcc, v0, 64                      // coord0.1: coord0 += d0*sg0*VW + vc0
v_cmp_lt_u32 s[52:53], v4, s[sgprSizeI]            // coord0 < size0
v_cmp_lt_u32 s[56:57], v1, s[sgprSizeJ]            // coord1 < size1
s_and_b64 s[56:57], s[52:53], s[56:57]             // in0 && in1
_v_add_lshl_u32 v27, v2, v4, 0x1                   // scaleToBpe: accumulate d0 lower and *= bpe into Cin addr
v_cndmask_b32 v27, -1, v27, s[56:57]               // LDC clip if OOB. offset
_v_add_lshl_u32 v26, v3, v4, 0x1                   // scaleToBpe: accumulate d0 lower and *= bpe into Cin addr
v_cndmask_b32 v26, -1, v26, s[56:57]               // LDD clip if OOB. offset
/* (d1,vc1,d0,vc0)=(7,3,2,0) */
s_mov_b32 s52, 128                                 // coordOffset0 d0=2 vc0=0
_v_add_co_u32 v4, vcc, v0, s52                     // coord0.2: coord0 += d0*sg0*VW + vc0
v_cmp_lt_u32 s[52:53], v4, s[sgprSizeI]            // coord0 < size0
v_cmp_lt_u32 s[56:57], v1, s[sgprSizeJ]            // coord1 < size1
s_and_b64 s[56:57], s[52:53], s[56:57]             // in0 && in1
_v_add_lshl_u32 v31, v2, v4, 0x1                   // scaleToBpe: accumulate d0 lower and *= bpe into Cin addr
v_cndmask_b32 v31, -1, v31, s[56:57]               // LDC clip if OOB. offset
_v_add_lshl_u32 v30, v3, v4, 0x1                   // scaleToBpe: accumulate d0 lower and *= bpe into Cin addr
v_cndmask_b32 v30, -1, v30, s[56:57]               // LDD clip if OOB. offset
/* (d1,vc1,d0,vc0)=(7,3,3,0) */
s_mov_b32 s52, 192                                 // coordOffset0 d0=3 vc0=0
_v_add_co_u32 v4, vcc, v0, s52                     // coord0.2: coord0 += d0*sg0*VW + vc0
v_cmp_lt_u32 s[52:53], v4, s[sgprSizeI]            // coord0 < size0
v_cmp_lt_u32 s[56:57], v1, s[sgprSizeJ]            // coord1 < size1
s_and_b64 s[56:57], s[52:53], s[56:57]             // in0 && in1
_v_add_lshl_u32 v35, v2, v4, 0x1                   // scaleToBpe: accumulate d0 lower and *= bpe into Cin addr
v_cndmask_b32 v35, -1, v35, s[56:57]               // LDC clip if OOB. offset
_v_add_lshl_u32 v34, v3, v4, 0x1                   // scaleToBpe: accumulate d0 lower and *= bpe into Cin addr
v_cndmask_b32 v34, -1, v34, s[56:57]               // LDD clip if OOB. offset
/* (d1,vc1,d0,vc0)=(8,0,0,0) */
_v_add_co_u32 v1, vcc, v1, 37                      // coord1.1: coord1Vgpr += d1*sg1*VW + vc1

/* Fix for UseInitialStridesCD, emitAddressSetupCode */
s_mul_i32 s52, s[sgprStrideC1J], 37                // scale stride
_v_add_u32 v2, v2, s52                             // ROWINC- Move cinRowPtr to next row
s_mul_i32 s52, s[sgprStrideD1J], 37                // scale stride
_v_add_u32 v3, v3, s52                             // Move coutRowPtr to next row
v_cmp_lt_u32 s[52:53], v0, s[sgprSizeI]            // coord0 < size0
v_cmp_lt_u32 s[56:57], v1, s[sgprSizeJ]            // coord1 < size1
s_and_b64 s[56:57], s[52:53], s[56:57]             // in0 && in1
_v_add_lshl_u32 v39, v2, v0, 0x1                   // scaleToBpe: accumulate d0 lower and *= bpe into Cin addr
v_cndmask_b32 v39, -1, v39, s[56:57]               // LDC clip if OOB. offset
_v_add_lshl_u32 v38, v3, v0, 0x1                   // scaleToBpe: accumulate d0 lower and *= bpe into Cin addr
v_cndmask_b32 v38, -1, v38, s[56:57]               // LDD clip if OOB. offset
/* (d1,vc1,d0,vc0)=(8,0,1,0) */
_v_add_co_u32 v4, vcc, v0, 64                      // coord0.1: coord0 += d0*sg0*VW + vc0
v_cmp_lt_u32 s[52:53], v4, s[sgprSizeI]            // coord0 < size0
v_cmp_lt_u32 s[56:57], v1, s[sgprSizeJ]            // coord1 < size1
s_and_b64 s[56:57], s[52:53], s[56:57]             // in0 && in1
_v_add_lshl_u32 v43, v2, v4, 0x1                   // scaleToBpe: accumulate d0 lower and *= bpe into Cin addr
v_cndmask_b32 v43, -1, v43, s[56:57]               // LDC clip if OOB. offset
_v_add_lshl_u32 v42, v3, v4, 0x1                   // scaleToBpe: accumulate d0 lower and *= bpe into Cin addr
v_cndmask_b32 v42, -1, v42, s[56:57]               // LDD clip if OOB. offset
/* (d1,vc1,d0,vc0)=(8,0,2,0) */
s_mov_b32 s52, 128                                 // coordOffset0 d0=2 vc0=0
_v_add_co_u32 v4, vcc, v0, s52                     // coord0.2: coord0 += d0*sg0*VW + vc0
v_cmp_lt_u32 s[52:53], v4, s[sgprSizeI]            // coord0 < size0
v_cmp_lt_u32 s[56:57], v1, s[sgprSizeJ]            // coord1 < size1
s_and_b64 s[56:57], s[52:53], s[56:57]             // in0 && in1
_v_add_lshl_u32 v47, v2, v4, 0x1                   // scaleToBpe: accumulate d0 lower and *= bpe into Cin addr
v_cndmask_b32 v47, -1, v47, s[56:57]               // LDC clip if OOB. offset
_v_add_lshl_u32 v46, v3, v4, 0x1                   // scaleToBpe: accumulate d0 lower and *= bpe into Cin addr
v_cndmask_b32 v46, -1, v46, s[56:57]               // LDD clip if OOB. offset
/* (d1,vc1,d0,vc0)=(8,0,3,0) */
s_mov_b32 s52, 192                                 // coordOffset0 d0=3 vc0=0
_v_add_co_u32 v4, vcc, v0, s52                     // coord0.2: coord0 += d0*sg0*VW + vc0
v_cmp_lt_u32 s[52:53], v4, s[sgprSizeI]            // coord0 < size0
v_cmp_lt_u32 s[56:57], v1, s[sgprSizeJ]            // coord1 < size1
s_and_b64 s[56:57], s[52:53], s[56:57]             // in0 && in1
_v_add_lshl_u32 v51, v2, v4, 0x1                   // scaleToBpe: accumulate d0 lower and *= bpe into Cin addr
v_cndmask_b32 v51, -1, v51, s[56:57]               // LDC clip if OOB. offset
_v_add_lshl_u32 v50, v3, v4, 0x1                   // scaleToBpe: accumulate d0 lower and *= bpe into Cin addr
v_cndmask_b32 v50, -1, v50, s[56:57]               // LDD clip if OOB. offset
/* (d1,vc1,d0,vc0)=(8,1,0,0) */
_v_add_co_u32 v1, vcc, v1, 1                       // coord1.1: coord1Vgpr += d1*sg1*VW + vc1

/* Fix for UseInitialStridesCD, emitAddressSetupCode */
_v_add_u32 v2, v2, s[sgprStrideC1J]                // ROWINC- Move cinRowPtr to next row
_v_add_u32 v3, v3, s[sgprStrideD1J]                // Move coutRowPtr to next row
v_cmp_lt_u32 s[52:53], v0, s[sgprSizeI]            // coord0 < size0
v_cmp_lt_u32 s[56:57], v1, s[sgprSizeJ]            // coord1 < size1
s_and_b64 s[56:57], s[52:53], s[56:57]             // in0 && in1
_v_add_lshl_u32 v55, v2, v0, 0x1                   // scaleToBpe: accumulate d0 lower and *= bpe into Cin addr
v_cndmask_b32 v55, -1, v55, s[56:57]               // LDC clip if OOB. offset
_v_add_lshl_u32 v54, v3, v0, 0x1                   // scaleToBpe: accumulate d0 lower and *= bpe into Cin addr
v_cndmask_b32 v54, -1, v54, s[56:57]               // LDD clip if OOB. offset
/* (d1,vc1,d0,vc0)=(8,1,1,0) */
_v_add_co_u32 v4, vcc, v0, 64                      // coord0.1: coord0 += d0*sg0*VW + vc0
v_cmp_lt_u32 s[52:53], v4, s[sgprSizeI]            // coord0 < size0
v_cmp_lt_u32 s[56:57], v1, s[sgprSizeJ]            // coord1 < size1
s_and_b64 s[56:57], s[52:53], s[56:57]             // in0 && in1
_v_add_lshl_u32 v59, v2, v4, 0x1                   // scaleToBpe: accumulate d0 lower and *= bpe into Cin addr
v_cndmask_b32 v59, -1, v59, s[56:57]               // LDC clip if OOB. offset
_v_add_lshl_u32 v58, v3, v4, 0x1                   // scaleToBpe: accumulate d0 lower and *= bpe into Cin addr
v_cndmask_b32 v58, -1, v58, s[56:57]               // LDD clip if OOB. offset
/* (d1,vc1,d0,vc0)=(8,1,2,0) */
s_mov_b32 s52, 128                                 // coordOffset0 d0=2 vc0=0
_v_add_co_u32 v4, vcc, v0, s52                     // coord0.2: coord0 += d0*sg0*VW + vc0
v_cmp_lt_u32 s[52:53], v4, s[sgprSizeI]            // coord0 < size0
v_cmp_lt_u32 s[56:57], v1, s[sgprSizeJ]            // coord1 < size1
s_and_b64 s[56:57], s[52:53], s[56:57]             // in0 && in1
_v_add_lshl_u32 v63, v2, v4, 0x1                   // scaleToBpe: accumulate d0 lower and *= bpe into Cin addr
v_cndmask_b32 v63, -1, v63, s[56:57]               // LDC clip if OOB. offset
_v_add_lshl_u32 v62, v3, v4, 0x1                   // scaleToBpe: accumulate d0 lower and *= bpe into Cin addr
v_cndmask_b32 v62, -1, v62, s[56:57]               // LDD clip if OOB. offset
/* (d1,vc1,d0,vc0)=(8,1,3,0) */
s_mov_b32 s52, 192                                 // coordOffset0 d0=3 vc0=0
_v_add_co_u32 v4, vcc, v0, s52                     // coord0.2: coord0 += d0*sg0*VW + vc0
v_cmp_lt_u32 s[52:53], v4, s[sgprSizeI]            // coord0 < size0
v_cmp_lt_u32 s[56:57], v1, s[sgprSizeJ]            // coord1 < size1
s_and_b64 s[56:57], s[52:53], s[56:57]             // in0 && in1
_v_add_lshl_u32 v67, v2, v4, 0x1                   // scaleToBpe: accumulate d0 lower and *= bpe into Cin addr
v_cndmask_b32 v67, -1, v67, s[56:57]               // LDC clip if OOB. offset
_v_add_lshl_u32 v66, v3, v4, 0x1                   // scaleToBpe: accumulate d0 lower and *= bpe into Cin addr
v_cndmask_b32 v66, -1, v66, s[56:57]               // LDD clip if OOB. offset
/* (d1,vc1,d0,vc0)=(8,2,0,0) */
_v_add_co_u32 v1, vcc, v1, 1                       // coord1.1: coord1Vgpr += d1*sg1*VW + vc1

/* Fix for UseInitialStridesCD, emitAddressSetupCode */
_v_add_u32 v2, v2, s[sgprStrideC1J]                // ROWINC- Move cinRowPtr to next row
_v_add_u32 v3, v3, s[sgprStrideD1J]                // Move coutRowPtr to next row
	;; [unrolled: 42-line block ×3, first 2 shown]
v_cmp_lt_u32 s[52:53], v0, s[sgprSizeI]            // coord0 < size0
v_cmp_lt_u32 s[56:57], v1, s[sgprSizeJ]            // coord1 < size1
s_and_b64 s[56:57], s[52:53], s[56:57]             // in0 && in1
_v_add_lshl_u32 v87, v2, v0, 0x1                   // scaleToBpe: accumulate d0 lower and *= bpe into Cin addr
v_cndmask_b32 v87, -1, v87, s[56:57]               // LDC clip if OOB. offset
_v_add_lshl_u32 v86, v3, v0, 0x1                   // scaleToBpe: accumulate d0 lower and *= bpe into Cin addr
v_cndmask_b32 v86, -1, v86, s[56:57]               // LDD clip if OOB. offset
/* (d1,vc1,d0,vc0)=(8,3,1,0) */
_v_add_co_u32 v4, vcc, v0, 64                      // coord0.1: coord0 += d0*sg0*VW + vc0
v_cmp_lt_u32 s[52:53], v4, s[sgprSizeI]            // coord0 < size0
v_cmp_lt_u32 s[56:57], v1, s[sgprSizeJ]            // coord1 < size1
s_and_b64 s[56:57], s[52:53], s[56:57]             // in0 && in1
_v_add_lshl_u32 v91, v2, v4, 0x1                   // scaleToBpe: accumulate d0 lower and *= bpe into Cin addr
v_cndmask_b32 v91, -1, v91, s[56:57]               // LDC clip if OOB. offset
_v_add_lshl_u32 v90, v3, v4, 0x1                   // scaleToBpe: accumulate d0 lower and *= bpe into Cin addr
v_cndmask_b32 v90, -1, v90, s[56:57]               // LDD clip if OOB. offset
/* (d1,vc1,d0,vc0)=(8,3,2,0) */
s_mov_b32 s52, 128                                 // coordOffset0 d0=2 vc0=0
_v_add_co_u32 v4, vcc, v0, s52                     // coord0.2: coord0 += d0*sg0*VW + vc0
v_cmp_lt_u32 s[52:53], v4, s[sgprSizeI]            // coord0 < size0
v_cmp_lt_u32 s[56:57], v1, s[sgprSizeJ]            // coord1 < size1
s_and_b64 s[56:57], s[52:53], s[56:57]             // in0 && in1
_v_add_lshl_u32 v95, v2, v4, 0x1                   // scaleToBpe: accumulate d0 lower and *= bpe into Cin addr
v_cndmask_b32 v95, -1, v95, s[56:57]               // LDC clip if OOB. offset
_v_add_lshl_u32 v94, v3, v4, 0x1                   // scaleToBpe: accumulate d0 lower and *= bpe into Cin addr
v_cndmask_b32 v94, -1, v94, s[56:57]               // LDD clip if OOB. offset
/* (d1,vc1,d0,vc0)=(8,3,3,0) */
s_mov_b32 s52, 192                                 // coordOffset0 d0=3 vc0=0
_v_add_co_u32 v4, vcc, v0, s52                     // coord0.2: coord0 += d0*sg0*VW + vc0
v_cmp_lt_u32 s[52:53], v4, s[sgprSizeI]            // coord0 < size0
v_cmp_lt_u32 s[56:57], v1, s[sgprSizeJ]            // coord1 < size1
s_and_b64 s[56:57], s[52:53], s[56:57]             // in0 && in1
_v_add_lshl_u32 v99, v2, v4, 0x1                   // scaleToBpe: accumulate d0 lower and *= bpe into Cin addr
v_cndmask_b32 v99, -1, v99, s[56:57]               // LDC clip if OOB. offset
_v_add_lshl_u32 v98, v3, v4, 0x1                   // scaleToBpe: accumulate d0 lower and *= bpe into Cin addr
v_cndmask_b32 v98, -1, v98, s[56:57]               // LDD clip if OOB. offset
/* (d1,vc1,d0,vc0)=(9,0,0,0) */
_v_add_co_u32 v1, vcc, v1, 5                       // coord1.1: coord1Vgpr += d1*sg1*VW + vc1

/* Fix for UseInitialStridesCD, emitAddressSetupCode */
s_mul_i32 s52, s[sgprStrideC1J], 5                 // scale stride
_v_add_u32 v2, v2, s52                             // ROWINC- Move cinRowPtr to next row
s_mul_i32 s52, s[sgprStrideD1J], 5                 // scale stride
_v_add_u32 v3, v3, s52                             // Move coutRowPtr to next row
v_cmp_lt_u32 s[52:53], v0, s[sgprSizeI]            // coord0 < size0
v_cmp_lt_u32 s[56:57], v1, s[sgprSizeJ]            // coord1 < size1
s_and_b64 s[56:57], s[52:53], s[56:57]             // in0 && in1
_v_add_lshl_u32 v103, v2, v0, 0x1                  // scaleToBpe: accumulate d0 lower and *= bpe into Cin addr
v_cndmask_b32 v103, -1, v103, s[56:57]             // LDC clip if OOB. offset
_v_add_lshl_u32 v102, v3, v0, 0x1                  // scaleToBpe: accumulate d0 lower and *= bpe into Cin addr
v_cndmask_b32 v102, -1, v102, s[56:57]             // LDD clip if OOB. offset
/* (d1,vc1,d0,vc0)=(9,0,1,0) */
_v_add_co_u32 v4, vcc, v0, 64                      // coord0.1: coord0 += d0*sg0*VW + vc0
v_cmp_lt_u32 s[52:53], v4, s[sgprSizeI]            // coord0 < size0
v_cmp_lt_u32 s[56:57], v1, s[sgprSizeJ]            // coord1 < size1
s_and_b64 s[56:57], s[52:53], s[56:57]             // in0 && in1
_v_add_lshl_u32 v107, v2, v4, 0x1                  // scaleToBpe: accumulate d0 lower and *= bpe into Cin addr
v_cndmask_b32 v107, -1, v107, s[56:57]             // LDC clip if OOB. offset
_v_add_lshl_u32 v106, v3, v4, 0x1                  // scaleToBpe: accumulate d0 lower and *= bpe into Cin addr
v_cndmask_b32 v106, -1, v106, s[56:57]             // LDD clip if OOB. offset
/* (d1,vc1,d0,vc0)=(9,0,2,0) */
s_mov_b32 s52, 128                                 // coordOffset0 d0=2 vc0=0
_v_add_co_u32 v4, vcc, v0, s52                     // coord0.2: coord0 += d0*sg0*VW + vc0
v_cmp_lt_u32 s[52:53], v4, s[sgprSizeI]            // coord0 < size0
v_cmp_lt_u32 s[56:57], v1, s[sgprSizeJ]            // coord1 < size1
s_and_b64 s[56:57], s[52:53], s[56:57]             // in0 && in1
_v_add_lshl_u32 v111, v2, v4, 0x1                  // scaleToBpe: accumulate d0 lower and *= bpe into Cin addr
v_cndmask_b32 v111, -1, v111, s[56:57]             // LDC clip if OOB. offset
_v_add_lshl_u32 v110, v3, v4, 0x1                  // scaleToBpe: accumulate d0 lower and *= bpe into Cin addr
v_cndmask_b32 v110, -1, v110, s[56:57]             // LDD clip if OOB. offset
/* (d1,vc1,d0,vc0)=(9,0,3,0) */
s_mov_b32 s52, 192                                 // coordOffset0 d0=3 vc0=0
_v_add_co_u32 v4, vcc, v0, s52                     // coord0.2: coord0 += d0*sg0*VW + vc0
v_cmp_lt_u32 s[52:53], v4, s[sgprSizeI]            // coord0 < size0
v_cmp_lt_u32 s[56:57], v1, s[sgprSizeJ]            // coord1 < size1
s_and_b64 s[56:57], s[52:53], s[56:57]             // in0 && in1
_v_add_lshl_u32 v115, v2, v4, 0x1                  // scaleToBpe: accumulate d0 lower and *= bpe into Cin addr
v_cndmask_b32 v115, -1, v115, s[56:57]             // LDC clip if OOB. offset
_v_add_lshl_u32 v114, v3, v4, 0x1                  // scaleToBpe: accumulate d0 lower and *= bpe into Cin addr
v_cndmask_b32 v114, -1, v114, s[56:57]             // LDD clip if OOB. offset
/* (d1,vc1,d0,vc0)=(9,1,0,0) */
_v_add_co_u32 v1, vcc, v1, 1                       // coord1.1: coord1Vgpr += d1*sg1*VW + vc1

/* Fix for UseInitialStridesCD, emitAddressSetupCode */
_v_add_u32 v2, v2, s[sgprStrideC1J]                // ROWINC- Move cinRowPtr to next row
_v_add_u32 v3, v3, s[sgprStrideD1J]                // Move coutRowPtr to next row
v_cmp_lt_u32 s[52:53], v0, s[sgprSizeI]            // coord0 < size0
v_cmp_lt_u32 s[56:57], v1, s[sgprSizeJ]            // coord1 < size1
s_and_b64 s[56:57], s[52:53], s[56:57]             // in0 && in1
_v_add_lshl_u32 v119, v2, v0, 0x1                  // scaleToBpe: accumulate d0 lower and *= bpe into Cin addr
v_cndmask_b32 v119, -1, v119, s[56:57]             // LDC clip if OOB. offset
_v_add_lshl_u32 v118, v3, v0, 0x1                  // scaleToBpe: accumulate d0 lower and *= bpe into Cin addr
v_cndmask_b32 v118, -1, v118, s[56:57]             // LDD clip if OOB. offset
/* (d1,vc1,d0,vc0)=(9,1,1,0) */
_v_add_co_u32 v4, vcc, v0, 64                      // coord0.1: coord0 += d0*sg0*VW + vc0
v_cmp_lt_u32 s[52:53], v4, s[sgprSizeI]            // coord0 < size0
v_cmp_lt_u32 s[56:57], v1, s[sgprSizeJ]            // coord1 < size1
s_and_b64 s[56:57], s[52:53], s[56:57]             // in0 && in1
_v_add_lshl_u32 v123, v2, v4, 0x1                  // scaleToBpe: accumulate d0 lower and *= bpe into Cin addr
v_cndmask_b32 v123, -1, v123, s[56:57]             // LDC clip if OOB. offset
_v_add_lshl_u32 v122, v3, v4, 0x1                  // scaleToBpe: accumulate d0 lower and *= bpe into Cin addr
v_cndmask_b32 v122, -1, v122, s[56:57]             // LDD clip if OOB. offset
/* (d1,vc1,d0,vc0)=(9,1,2,0) */
s_mov_b32 s52, 128                                 // coordOffset0 d0=2 vc0=0
_v_add_co_u32 v4, vcc, v0, s52                     // coord0.2: coord0 += d0*sg0*VW + vc0
v_cmp_lt_u32 s[52:53], v4, s[sgprSizeI]            // coord0 < size0
v_cmp_lt_u32 s[56:57], v1, s[sgprSizeJ]            // coord1 < size1
s_and_b64 s[56:57], s[52:53], s[56:57]             // in0 && in1
_v_add_lshl_u32 v127, v2, v4, 0x1                  // scaleToBpe: accumulate d0 lower and *= bpe into Cin addr
v_cndmask_b32 v127, -1, v127, s[56:57]             // LDC clip if OOB. offset
_v_add_lshl_u32 v126, v3, v4, 0x1                  // scaleToBpe: accumulate d0 lower and *= bpe into Cin addr
v_cndmask_b32 v126, -1, v126, s[56:57]             // LDD clip if OOB. offset
/* (d1,vc1,d0,vc0)=(9,1,3,0) */
s_mov_b32 s52, 192                                 // coordOffset0 d0=3 vc0=0
_v_add_co_u32 v4, vcc, v0, s52                     // coord0.2: coord0 += d0*sg0*VW + vc0
v_cmp_lt_u32 s[52:53], v4, s[sgprSizeI]            // coord0 < size0
v_cmp_lt_u32 s[56:57], v1, s[sgprSizeJ]            // coord1 < size1
s_and_b64 s[56:57], s[52:53], s[56:57]             // in0 && in1
_v_add_lshl_u32 v131, v2, v4, 0x1                  // scaleToBpe: accumulate d0 lower and *= bpe into Cin addr
v_cndmask_b32 v131, -1, v131, s[56:57]             // LDC clip if OOB. offset
_v_add_lshl_u32 v130, v3, v4, 0x1                  // scaleToBpe: accumulate d0 lower and *= bpe into Cin addr
v_cndmask_b32 v130, -1, v130, s[56:57]             // LDD clip if OOB. offset
/* (d1,vc1,d0,vc0)=(9,2,0,0) */
_v_add_co_u32 v1, vcc, v1, 1                       // coord1.1: coord1Vgpr += d1*sg1*VW + vc1

/* Fix for UseInitialStridesCD, emitAddressSetupCode */
_v_add_u32 v2, v2, s[sgprStrideC1J]                // ROWINC- Move cinRowPtr to next row
_v_add_u32 v3, v3, s[sgprStrideD1J]                // Move coutRowPtr to next row
	;; [unrolled: 42-line block ×3, first 2 shown]
v_cmp_lt_u32 s[52:53], v0, s[sgprSizeI]            // coord0 < size0
v_cmp_lt_u32 s[56:57], v1, s[sgprSizeJ]            // coord1 < size1
s_and_b64 s[56:57], s[52:53], s[56:57]             // in0 && in1
_v_add_lshl_u32 v151, v2, v0, 0x1                  // scaleToBpe: accumulate d0 lower and *= bpe into Cin addr
v_cndmask_b32 v151, -1, v151, s[56:57]             // LDC clip if OOB. offset
_v_add_lshl_u32 v150, v3, v0, 0x1                  // scaleToBpe: accumulate d0 lower and *= bpe into Cin addr
v_cndmask_b32 v150, -1, v150, s[56:57]             // LDD clip if OOB. offset
/* (d1,vc1,d0,vc0)=(9,3,1,0) */
_v_add_co_u32 v4, vcc, v0, 64                      // coord0.1: coord0 += d0*sg0*VW + vc0
v_cmp_lt_u32 s[52:53], v4, s[sgprSizeI]            // coord0 < size0
v_cmp_lt_u32 s[56:57], v1, s[sgprSizeJ]            // coord1 < size1
s_and_b64 s[56:57], s[52:53], s[56:57]             // in0 && in1
_v_add_lshl_u32 v155, v2, v4, 0x1                  // scaleToBpe: accumulate d0 lower and *= bpe into Cin addr
v_cndmask_b32 v155, -1, v155, s[56:57]             // LDC clip if OOB. offset
_v_add_lshl_u32 v154, v3, v4, 0x1                  // scaleToBpe: accumulate d0 lower and *= bpe into Cin addr
v_cndmask_b32 v154, -1, v154, s[56:57]             // LDD clip if OOB. offset
/* (d1,vc1,d0,vc0)=(9,3,2,0) */
s_mov_b32 s52, 128                                 // coordOffset0 d0=2 vc0=0
_v_add_co_u32 v4, vcc, v0, s52                     // coord0.2: coord0 += d0*sg0*VW + vc0
v_cmp_lt_u32 s[52:53], v4, s[sgprSizeI]            // coord0 < size0
v_cmp_lt_u32 s[56:57], v1, s[sgprSizeJ]            // coord1 < size1
s_and_b64 s[56:57], s[52:53], s[56:57]             // in0 && in1
_v_add_lshl_u32 v159, v2, v4, 0x1                  // scaleToBpe: accumulate d0 lower and *= bpe into Cin addr
v_cndmask_b32 v159, -1, v159, s[56:57]             // LDC clip if OOB. offset
_v_add_lshl_u32 v158, v3, v4, 0x1                  // scaleToBpe: accumulate d0 lower and *= bpe into Cin addr
v_cndmask_b32 v158, -1, v158, s[56:57]             // LDD clip if OOB. offset
/* (d1,vc1,d0,vc0)=(9,3,3,0) */
s_mov_b32 s52, 192                                 // coordOffset0 d0=3 vc0=0
_v_add_co_u32 v4, vcc, v0, s52                     // coord0.2: coord0 += d0*sg0*VW + vc0
v_cmp_lt_u32 s[52:53], v4, s[sgprSizeI]            // coord0 < size0
v_cmp_lt_u32 s[56:57], v1, s[sgprSizeJ]            // coord1 < size1
s_and_b64 s[56:57], s[52:53], s[56:57]             // in0 && in1
_v_add_lshl_u32 v163, v2, v4, 0x1                  // scaleToBpe: accumulate d0 lower and *= bpe into Cin addr
v_cndmask_b32 v163, -1, v163, s[56:57]             // LDC clip if OOB. offset
_v_add_lshl_u32 v162, v3, v4, 0x1                  // scaleToBpe: accumulate d0 lower and *= bpe into Cin addr
v_cndmask_b32 v162, -1, v162, s[56:57]             // LDD clip if OOB. offset
/* (d1,vc1,d0,vc0)=(10,0,0,0) */
_v_add_co_u32 v1, vcc, v1, 5                       // coord1.1: coord1Vgpr += d1*sg1*VW + vc1

/* Fix for UseInitialStridesCD, emitAddressSetupCode */
s_mul_i32 s52, s[sgprStrideC1J], 5                 // scale stride
_v_add_u32 v2, v2, s52                             // ROWINC- Move cinRowPtr to next row
s_mul_i32 s52, s[sgprStrideD1J], 5                 // scale stride
_v_add_u32 v3, v3, s52                             // Move coutRowPtr to next row
v_cmp_lt_u32 s[52:53], v0, s[sgprSizeI]            // coord0 < size0
v_cmp_lt_u32 s[56:57], v1, s[sgprSizeJ]            // coord1 < size1
s_and_b64 s[56:57], s[52:53], s[56:57]             // in0 && in1
_v_add_lshl_u32 v167, v2, v0, 0x1                  // scaleToBpe: accumulate d0 lower and *= bpe into Cin addr
v_cndmask_b32 v167, -1, v167, s[56:57]             // LDC clip if OOB. offset
_v_add_lshl_u32 v166, v3, v0, 0x1                  // scaleToBpe: accumulate d0 lower and *= bpe into Cin addr
v_cndmask_b32 v166, -1, v166, s[56:57]             // LDD clip if OOB. offset
/* (d1,vc1,d0,vc0)=(10,0,1,0) */
_v_add_co_u32 v4, vcc, v0, 64                      // coord0.1: coord0 += d0*sg0*VW + vc0
v_cmp_lt_u32 s[52:53], v4, s[sgprSizeI]            // coord0 < size0
v_cmp_lt_u32 s[56:57], v1, s[sgprSizeJ]            // coord1 < size1
s_and_b64 s[56:57], s[52:53], s[56:57]             // in0 && in1
_v_add_lshl_u32 v171, v2, v4, 0x1                  // scaleToBpe: accumulate d0 lower and *= bpe into Cin addr
v_cndmask_b32 v171, -1, v171, s[56:57]             // LDC clip if OOB. offset
_v_add_lshl_u32 v170, v3, v4, 0x1                  // scaleToBpe: accumulate d0 lower and *= bpe into Cin addr
v_cndmask_b32 v170, -1, v170, s[56:57]             // LDD clip if OOB. offset
/* (d1,vc1,d0,vc0)=(10,0,2,0) */
s_mov_b32 s52, 128                                 // coordOffset0 d0=2 vc0=0
_v_add_co_u32 v4, vcc, v0, s52                     // coord0.2: coord0 += d0*sg0*VW + vc0
v_cmp_lt_u32 s[52:53], v4, s[sgprSizeI]            // coord0 < size0
v_cmp_lt_u32 s[56:57], v1, s[sgprSizeJ]            // coord1 < size1
s_and_b64 s[56:57], s[52:53], s[56:57]             // in0 && in1
_v_add_lshl_u32 v178, v2, v4, 0x1                  // scaleToBpe: accumulate d0 lower and *= bpe into Cin addr
v_cndmask_b32 v178, -1, v178, s[56:57]             // LDC clip if OOB. offset
_v_add_lshl_u32 v177, v3, v4, 0x1                  // scaleToBpe: accumulate d0 lower and *= bpe into Cin addr
v_cndmask_b32 v177, -1, v177, s[56:57]             // LDD clip if OOB. offset
/* (d1,vc1,d0,vc0)=(10,0,3,0) */
s_mov_b32 s52, 192                                 // coordOffset0 d0=3 vc0=0
_v_add_co_u32 v4, vcc, v0, s52                     // coord0.2: coord0 += d0*sg0*VW + vc0
v_cmp_lt_u32 s[52:53], v4, s[sgprSizeI]            // coord0 < size0
v_cmp_lt_u32 s[56:57], v1, s[sgprSizeJ]            // coord1 < size1
s_and_b64 s[56:57], s[52:53], s[56:57]             // in0 && in1
_v_add_lshl_u32 v182, v2, v4, 0x1                  // scaleToBpe: accumulate d0 lower and *= bpe into Cin addr
v_cndmask_b32 v182, -1, v182, s[56:57]             // LDC clip if OOB. offset
_v_add_lshl_u32 v181, v3, v4, 0x1                  // scaleToBpe: accumulate d0 lower and *= bpe into Cin addr
v_cndmask_b32 v181, -1, v181, s[56:57]             // LDD clip if OOB. offset
/* (d1,vc1,d0,vc0)=(10,1,0,0) */
_v_add_co_u32 v1, vcc, v1, 1                       // coord1.1: coord1Vgpr += d1*sg1*VW + vc1

/* Fix for UseInitialStridesCD, emitAddressSetupCode */
_v_add_u32 v2, v2, s[sgprStrideC1J]                // ROWINC- Move cinRowPtr to next row
_v_add_u32 v3, v3, s[sgprStrideD1J]                // Move coutRowPtr to next row
v_cmp_lt_u32 s[52:53], v0, s[sgprSizeI]            // coord0 < size0
v_cmp_lt_u32 s[56:57], v1, s[sgprSizeJ]            // coord1 < size1
s_and_b64 s[56:57], s[52:53], s[56:57]             // in0 && in1
_v_add_lshl_u32 v186, v2, v0, 0x1                  // scaleToBpe: accumulate d0 lower and *= bpe into Cin addr
v_cndmask_b32 v186, -1, v186, s[56:57]             // LDC clip if OOB. offset
_v_add_lshl_u32 v185, v3, v0, 0x1                  // scaleToBpe: accumulate d0 lower and *= bpe into Cin addr
v_cndmask_b32 v185, -1, v185, s[56:57]             // LDD clip if OOB. offset
/* (d1,vc1,d0,vc0)=(10,1,1,0) */
_v_add_co_u32 v4, vcc, v0, 64                      // coord0.1: coord0 += d0*sg0*VW + vc0
v_cmp_lt_u32 s[52:53], v4, s[sgprSizeI]            // coord0 < size0
v_cmp_lt_u32 s[56:57], v1, s[sgprSizeJ]            // coord1 < size1
s_and_b64 s[56:57], s[52:53], s[56:57]             // in0 && in1
_v_add_lshl_u32 v190, v2, v4, 0x1                  // scaleToBpe: accumulate d0 lower and *= bpe into Cin addr
v_cndmask_b32 v190, -1, v190, s[56:57]             // LDC clip if OOB. offset
_v_add_lshl_u32 v189, v3, v4, 0x1                  // scaleToBpe: accumulate d0 lower and *= bpe into Cin addr
v_cndmask_b32 v189, -1, v189, s[56:57]             // LDD clip if OOB. offset
/* (d1,vc1,d0,vc0)=(10,1,2,0) */
s_mov_b32 s52, 128                                 // coordOffset0 d0=2 vc0=0
_v_add_co_u32 v4, vcc, v0, s52                     // coord0.2: coord0 += d0*sg0*VW + vc0
v_cmp_lt_u32 s[52:53], v4, s[sgprSizeI]            // coord0 < size0
v_cmp_lt_u32 s[56:57], v1, s[sgprSizeJ]            // coord1 < size1
s_and_b64 s[56:57], s[52:53], s[56:57]             // in0 && in1
_v_add_lshl_u32 v194, v2, v4, 0x1                  // scaleToBpe: accumulate d0 lower and *= bpe into Cin addr
v_cndmask_b32 v194, -1, v194, s[56:57]             // LDC clip if OOB. offset
_v_add_lshl_u32 v193, v3, v4, 0x1                  // scaleToBpe: accumulate d0 lower and *= bpe into Cin addr
v_cndmask_b32 v193, -1, v193, s[56:57]             // LDD clip if OOB. offset
/* (d1,vc1,d0,vc0)=(10,1,3,0) */
s_mov_b32 s52, 192                                 // coordOffset0 d0=3 vc0=0
_v_add_co_u32 v4, vcc, v0, s52                     // coord0.2: coord0 += d0*sg0*VW + vc0
v_cmp_lt_u32 s[52:53], v4, s[sgprSizeI]            // coord0 < size0
v_cmp_lt_u32 s[56:57], v1, s[sgprSizeJ]            // coord1 < size1
s_and_b64 s[56:57], s[52:53], s[56:57]             // in0 && in1
_v_add_lshl_u32 v198, v2, v4, 0x1                  // scaleToBpe: accumulate d0 lower and *= bpe into Cin addr
v_cndmask_b32 v198, -1, v198, s[56:57]             // LDC clip if OOB. offset
_v_add_lshl_u32 v197, v3, v4, 0x1                  // scaleToBpe: accumulate d0 lower and *= bpe into Cin addr
v_cndmask_b32 v197, -1, v197, s[56:57]             // LDD clip if OOB. offset
/* (d1,vc1,d0,vc0)=(10,2,0,0) */
_v_add_co_u32 v1, vcc, v1, 1                       // coord1.1: coord1Vgpr += d1*sg1*VW + vc1

/* Fix for UseInitialStridesCD, emitAddressSetupCode */
_v_add_u32 v2, v2, s[sgprStrideC1J]                // ROWINC- Move cinRowPtr to next row
_v_add_u32 v3, v3, s[sgprStrideD1J]                // Move coutRowPtr to next row
	;; [unrolled: 42-line block ×3, first 2 shown]
v_cmp_lt_u32 s[52:53], v0, s[sgprSizeI]            // coord0 < size0
v_cmp_lt_u32 s[56:57], v1, s[sgprSizeJ]            // coord1 < size1
s_and_b64 s[56:57], s[52:53], s[56:57]             // in0 && in1
_v_add_lshl_u32 v218, v2, v0, 0x1                  // scaleToBpe: accumulate d0 lower and *= bpe into Cin addr
v_cndmask_b32 v218, -1, v218, s[56:57]             // LDC clip if OOB. offset
_v_add_lshl_u32 v217, v3, v0, 0x1                  // scaleToBpe: accumulate d0 lower and *= bpe into Cin addr
v_cndmask_b32 v217, -1, v217, s[56:57]             // LDD clip if OOB. offset
/* (d1,vc1,d0,vc0)=(10,3,1,0) */
_v_add_co_u32 v4, vcc, v0, 64                      // coord0.1: coord0 += d0*sg0*VW + vc0
v_cmp_lt_u32 s[52:53], v4, s[sgprSizeI]            // coord0 < size0
v_cmp_lt_u32 s[56:57], v1, s[sgprSizeJ]            // coord1 < size1
s_and_b64 s[56:57], s[52:53], s[56:57]             // in0 && in1
_v_add_lshl_u32 v222, v2, v4, 0x1                  // scaleToBpe: accumulate d0 lower and *= bpe into Cin addr
v_cndmask_b32 v222, -1, v222, s[56:57]             // LDC clip if OOB. offset
_v_add_lshl_u32 v221, v3, v4, 0x1                  // scaleToBpe: accumulate d0 lower and *= bpe into Cin addr
v_cndmask_b32 v221, -1, v221, s[56:57]             // LDD clip if OOB. offset
/* (d1,vc1,d0,vc0)=(10,3,2,0) */
s_mov_b32 s52, 128                                 // coordOffset0 d0=2 vc0=0
_v_add_co_u32 v4, vcc, v0, s52                     // coord0.2: coord0 += d0*sg0*VW + vc0
v_cmp_lt_u32 s[52:53], v4, s[sgprSizeI]            // coord0 < size0
v_cmp_lt_u32 s[56:57], v1, s[sgprSizeJ]            // coord1 < size1
s_and_b64 s[56:57], s[52:53], s[56:57]             // in0 && in1
_v_add_lshl_u32 v226, v2, v4, 0x1                  // scaleToBpe: accumulate d0 lower and *= bpe into Cin addr
v_cndmask_b32 v226, -1, v226, s[56:57]             // LDC clip if OOB. offset
_v_add_lshl_u32 v225, v3, v4, 0x1                  // scaleToBpe: accumulate d0 lower and *= bpe into Cin addr
v_cndmask_b32 v225, -1, v225, s[56:57]             // LDD clip if OOB. offset
/* (d1,vc1,d0,vc0)=(10,3,3,0) */
s_mov_b32 s52, 192                                 // coordOffset0 d0=3 vc0=0
_v_add_co_u32 v4, vcc, v0, s52                     // coord0.2: coord0 += d0*sg0*VW + vc0
v_cmp_lt_u32 s[52:53], v4, s[sgprSizeI]            // coord0 < size0
v_cmp_lt_u32 s[56:57], v1, s[sgprSizeJ]            // coord1 < size1
s_and_b64 s[56:57], s[52:53], s[56:57]             // in0 && in1
_v_add_lshl_u32 v230, v2, v4, 0x1                  // scaleToBpe: accumulate d0 lower and *= bpe into Cin addr
v_cndmask_b32 v230, -1, v230, s[56:57]             // LDC clip if OOB. offset
_v_add_lshl_u32 v229, v3, v4, 0x1                  // scaleToBpe: accumulate d0 lower and *= bpe into Cin addr
v_cndmask_b32 v229, -1, v229, s[56:57]             // LDD clip if OOB. offset
/* (d1,vc1,d0,vc0)=(11,0,0,0) */
_v_add_co_u32 v1, vcc, v1, 5                       // coord1.1: coord1Vgpr += d1*sg1*VW + vc1

/* Fix for UseInitialStridesCD, emitAddressSetupCode */
s_mul_i32 s52, s[sgprStrideC1J], 5                 // scale stride
_v_add_u32 v2, v2, s52                             // ROWINC- Move cinRowPtr to next row
s_mul_i32 s52, s[sgprStrideD1J], 5                 // scale stride
_v_add_u32 v3, v3, s52                             // Move coutRowPtr to next row
v_cmp_lt_u32 s[52:53], v0, s[sgprSizeI]            // coord0 < size0
v_cmp_lt_u32 s[56:57], v1, s[sgprSizeJ]            // coord1 < size1
s_and_b64 s[56:57], s[52:53], s[56:57]             // in0 && in1
_v_add_lshl_u32 v234, v2, v0, 0x1                  // scaleToBpe: accumulate d0 lower and *= bpe into Cin addr
v_cndmask_b32 v234, -1, v234, s[56:57]             // LDC clip if OOB. offset
_v_add_lshl_u32 v233, v3, v0, 0x1                  // scaleToBpe: accumulate d0 lower and *= bpe into Cin addr
v_cndmask_b32 v233, -1, v233, s[56:57]             // LDD clip if OOB. offset
/* (d1,vc1,d0,vc0)=(11,0,1,0) */
_v_add_co_u32 v4, vcc, v0, 64                      // coord0.1: coord0 += d0*sg0*VW + vc0
v_cmp_lt_u32 s[52:53], v4, s[sgprSizeI]            // coord0 < size0
v_cmp_lt_u32 s[56:57], v1, s[sgprSizeJ]            // coord1 < size1
s_and_b64 s[56:57], s[52:53], s[56:57]             // in0 && in1
_v_add_lshl_u32 v238, v2, v4, 0x1                  // scaleToBpe: accumulate d0 lower and *= bpe into Cin addr
v_cndmask_b32 v238, -1, v238, s[56:57]             // LDC clip if OOB. offset
_v_add_lshl_u32 v237, v3, v4, 0x1                  // scaleToBpe: accumulate d0 lower and *= bpe into Cin addr
v_cndmask_b32 v237, -1, v237, s[56:57]             // LDD clip if OOB. offset
/* (d1,vc1,d0,vc0)=(11,0,2,0) */
s_mov_b32 s52, 128                                 // coordOffset0 d0=2 vc0=0
_v_add_co_u32 v4, vcc, v0, s52                     // coord0.2: coord0 += d0*sg0*VW + vc0
v_cmp_lt_u32 s[52:53], v4, s[sgprSizeI]            // coord0 < size0
v_cmp_lt_u32 s[56:57], v1, s[sgprSizeJ]            // coord1 < size1
s_and_b64 s[56:57], s[52:53], s[56:57]             // in0 && in1
_v_add_lshl_u32 v242, v2, v4, 0x1                  // scaleToBpe: accumulate d0 lower and *= bpe into Cin addr
v_cndmask_b32 v242, -1, v242, s[56:57]             // LDC clip if OOB. offset
_v_add_lshl_u32 v241, v3, v4, 0x1                  // scaleToBpe: accumulate d0 lower and *= bpe into Cin addr
v_cndmask_b32 v241, -1, v241, s[56:57]             // LDD clip if OOB. offset
/* (d1,vc1,d0,vc0)=(11,0,3,0) */
s_mov_b32 s52, 192                                 // coordOffset0 d0=3 vc0=0
_v_add_co_u32 v4, vcc, v0, s52                     // coord0.2: coord0 += d0*sg0*VW + vc0
v_cmp_lt_u32 s[52:53], v4, s[sgprSizeI]            // coord0 < size0
v_cmp_lt_u32 s[56:57], v1, s[sgprSizeJ]            // coord1 < size1
s_and_b64 s[56:57], s[52:53], s[56:57]             // in0 && in1
_v_add_lshl_u32 v246, v2, v4, 0x1                  // scaleToBpe: accumulate d0 lower and *= bpe into Cin addr
v_cndmask_b32 v246, -1, v246, s[56:57]             // LDC clip if OOB. offset
_v_add_lshl_u32 v245, v3, v4, 0x1                  // scaleToBpe: accumulate d0 lower and *= bpe into Cin addr
v_cndmask_b32 v245, -1, v245, s[56:57]             // LDD clip if OOB. offset
_buffer_load_d16_b16 v8, v7, s[sgprSrdC:sgprSrdC+3], 0, offen offset:0,  sc0 sc1 // load C for beta calc
_buffer_load_d16_b16 v12, v11, s[sgprSrdC:sgprSrdC+3], 0, offen offset:0,  sc0 sc1 // load C for beta calc
	;; [unrolled: 1-line block ×60, first 2 shown]
s_sleep 3 // optimization: sync and wait
s_barrier
v_accvgpr_read_b32 v[vgprValuC+9], acc78 // copy acc to vreg[120]
v_accvgpr_read_b32 v[vgprValuC+13], acc94 // copy acc to vreg[121]
v_accvgpr_read_b32 v[vgprValuC+17], acc110 // copy acc to vreg[122]
v_accvgpr_read_b32 v[vgprValuC+21], acc126 // copy acc to vreg[123]
v_accvgpr_read_b32 v[vgprValuC+25], acc79 // copy acc to vreg[124]
v_accvgpr_read_b32 v[vgprValuC+29], acc95 // copy acc to vreg[125]
v_accvgpr_read_b32 v[vgprValuC+33], acc111 // copy acc to vreg[126]
v_accvgpr_read_b32 v[vgprValuC+37], acc127 // copy acc to vreg[127]
v_accvgpr_read_b32 v[vgprValuC+41], acc128 // copy acc to vreg[128]
v_accvgpr_read_b32 v[vgprValuC+45], acc144 // copy acc to vreg[129]
v_accvgpr_read_b32 v[vgprValuC+49], acc160 // copy acc to vreg[130]
v_accvgpr_read_b32 v[vgprValuC+53], acc176 // copy acc to vreg[131]
v_accvgpr_read_b32 v[vgprValuC+57], acc129 // copy acc to vreg[132]
v_accvgpr_read_b32 v[vgprValuC+61], acc145 // copy acc to vreg[133]
v_accvgpr_read_b32 v[vgprValuC+65], acc161 // copy acc to vreg[134]
v_accvgpr_read_b32 v[vgprValuC+69], acc177 // copy acc to vreg[135]
v_accvgpr_read_b32 v[vgprValuC+73], acc130 // copy acc to vreg[136]
v_accvgpr_read_b32 v[vgprValuC+77], acc146 // copy acc to vreg[137]
v_accvgpr_read_b32 v[vgprValuC+81], acc162 // copy acc to vreg[138]
v_accvgpr_read_b32 v[vgprValuC+85], acc178 // copy acc to vreg[139]
v_accvgpr_read_b32 v[vgprValuC+89], acc131 // copy acc to vreg[140]
v_accvgpr_read_b32 v[vgprValuC+93], acc147 // copy acc to vreg[141]
v_accvgpr_read_b32 v[vgprValuC+97], acc163 // copy acc to vreg[142]
v_accvgpr_read_b32 v[vgprValuC+101], acc179 // copy acc to vreg[143]
v_accvgpr_read_b32 v[vgprValuC+105], acc132 // copy acc to vreg[144]
v_accvgpr_read_b32 v[vgprValuC+109], acc148 // copy acc to vreg[145]
v_accvgpr_read_b32 v[vgprValuC+113], acc164 // copy acc to vreg[146]
v_accvgpr_read_b32 v[vgprValuC+117], acc180 // copy acc to vreg[147]
v_accvgpr_read_b32 v[vgprValuC+121], acc133 // copy acc to vreg[148]
v_accvgpr_read_b32 v[vgprValuC+125], acc149 // copy acc to vreg[149]
v_accvgpr_read_b32 v[vgprValuC+129], acc165 // copy acc to vreg[150]
v_accvgpr_read_b32 v[vgprValuC+133], acc181 // copy acc to vreg[151]
v_accvgpr_read_b32 v[vgprValuC+137], acc134 // copy acc to vreg[152]
v_accvgpr_read_b32 v[vgprValuC+141], acc150 // copy acc to vreg[153]
v_accvgpr_read_b32 v[vgprValuC+145], acc166 // copy acc to vreg[154]
v_accvgpr_read_b32 v[vgprValuC+149], acc182 // copy acc to vreg[155]
v_accvgpr_read_b32 v[vgprValuC+153], acc135 // copy acc to vreg[156]
v_accvgpr_read_b32 v[vgprValuC+157], acc151 // copy acc to vreg[157]
v_accvgpr_read_b32 v[vgprValuC+161], acc167 // copy acc to vreg[158]
v_accvgpr_read_b32 v[vgprValuC+165], acc183 // copy acc to vreg[159]
v_accvgpr_read_b32 v[vgprValuC+169], acc136 // copy acc to vreg[160]
v_accvgpr_read_b32 v[vgprValuC+176], acc152 // copy acc to vreg[161]
v_accvgpr_read_b32 v[vgprValuC+180], acc168 // copy acc to vreg[162]
v_accvgpr_read_b32 v[vgprValuC+184], acc184 // copy acc to vreg[163]
v_accvgpr_read_b32 v[vgprValuC+188], acc137 // copy acc to vreg[164]
v_accvgpr_read_b32 v[vgprValuC+192], acc153 // copy acc to vreg[165]
v_accvgpr_read_b32 v[vgprValuC+196], acc169 // copy acc to vreg[166]
v_accvgpr_read_b32 v[vgprValuC+200], acc185 // copy acc to vreg[167]
v_accvgpr_read_b32 v[vgprValuC+204], acc138 // copy acc to vreg[168]
v_accvgpr_read_b32 v[vgprValuC+208], acc154 // copy acc to vreg[169]
v_accvgpr_read_b32 v[vgprValuC+212], acc170 // copy acc to vreg[170]
v_accvgpr_read_b32 v[vgprValuC+216], acc186 // copy acc to vreg[171]
v_accvgpr_read_b32 v[vgprValuC+220], acc139 // copy acc to vreg[172]
v_accvgpr_read_b32 v[vgprValuC+224], acc155 // copy acc to vreg[173]
v_accvgpr_read_b32 v[vgprValuC+228], acc171 // copy acc to vreg[174]
v_accvgpr_read_b32 v[vgprValuC+232], acc187 // copy acc to vreg[175]
v_accvgpr_read_b32 v[vgprValuC+236], acc140 // copy acc to vreg[176]
v_accvgpr_read_b32 v[vgprValuC+240], acc156 // copy acc to vreg[177]
v_accvgpr_read_b32 v[vgprValuC+244], acc172 // copy acc to vreg[178]
v_accvgpr_read_b32 v[vgprValuC+248], acc188 // copy acc to vreg[179]
s_nop 1                                            // 2 wait states required before reading vgpr

/* rC *= alpha batchElements=[(7, 0, 2, 0), (7, 1, 2, 0), (7, 2, 2, 0), (7, 3, 2, 0), (7, 0, 3, 0), (7, 1, 3, 0), (7, 2, 3, 0), (7, 3, 3, 0), (8, 0, 0, 0), (8, 1, 0, 0), (8, 2, 0, 0), (8, 3, 0, 0), (8, 0, 1, 0), (8, 1, 1, 0), (8, 2, 1, 0), (8, 3, 1, 0), (8, 0, 2, 0), (8, 1, 2, 0), (8, 2, 2, 0), (8, 3, 2, 0), (8, 0, 3, 0), (8, 1, 3, 0), (8, 2, 3, 0), (8, 3, 3, 0), (9, 0, 0, 0), (9, 1, 0, 0), (9, 2, 0, 0), (9, 3, 0, 0), (9, 0, 1, 0), (9, 1, 1, 0), (9, 2, 1, 0), (9, 3, 1, 0), (9, 0, 2, 0), (9, 1, 2, 0), (9, 2, 2, 0), (9, 3, 2, 0), (9, 0, 3, 0), (9, 1, 3, 0), (9, 2, 3, 0), (9, 3, 3, 0), (10, 0, 0, 0), (10, 1, 0, 0), (10, 2, 0, 0), (10, 3, 0, 0), (10, 0, 1, 0), (10, 1, 1, 0), (10, 2, 1, 0), (10, 3, 1, 0), (10, 0, 2, 0), (10, 1, 2, 0), (10, 2, 2, 0), (10, 3, 2, 0), (10, 0, 3, 0), (10, 1, 3, 0), (10, 2, 3, 0), (10, 3, 3, 0), (11, 0, 0, 0), (11, 1, 0, 0), (11, 2, 0, 0), (11, 3, 0, 0)] */
v_mul_f32 v[vgprValuC+9], s[sgprAlpha], v[vgprValuC+9] // *= alpha
v_mul_f32 v[vgprValuC+13], s[sgprAlpha], v[vgprValuC+13] // *= alpha
	;; [unrolled: 1-line block ×60, first 2 shown]
s_waitcnt vmcnt(0)                                 // wait C

/* apply mask, calc new C and issue writes */
v_fma_mix_f32 v[vgprValuC+9], s[sgprBeta], v8, v[vgprValuC+9], op_sel:[0,0,0] op_sel_hi:[0,1,0] // //C*=beta
v_cvt_f16_f32 v[vgprValuC+9], v[vgprValuC+9]       // convert C to fp16
v_fma_mix_f32 v[vgprValuC+13], s[sgprBeta], v12, v[vgprValuC+13], op_sel:[0,0,0] op_sel_hi:[0,1,0] // //C*=beta
v_cvt_f16_f32 v[vgprValuC+13], v[vgprValuC+13]     // convert C to fp16
v_fma_mix_f32 v[vgprValuC+17], s[sgprBeta], v16, v[vgprValuC+17], op_sel:[0,0,0] op_sel_hi:[0,1,0] // //C*=beta
v_cvt_f16_f32 v[vgprValuC+17], v[vgprValuC+17]     // convert C to fp16
	;; [unrolled: 2-line block ×22, first 2 shown]
v_fma_mix_f32 v[vgprValuC+101], s[sgprBeta], v100, v[vgprValuC+101], op_sel:[0,0,0] op_sel_hi:[0,1,0] // //C*=beta
v_cvt_f16_f32 v[vgprValuC+101], v[vgprValuC+101]   // convert C to fp16
v_fma_mix_f32 v[vgprValuC+105], s[sgprBeta], v104, v[vgprValuC+105], op_sel:[0,0,0] op_sel_hi:[0,1,0] // //C*=beta
v_cvt_f16_f32 v[vgprValuC+105], v[vgprValuC+105]   // convert C to fp16
	;; [unrolled: 2-line block ×37, first 2 shown]
_buffer_store_b16 v9, v6, s[sgprSrdD:sgprSrdD+3], 0, offen, offset:0,  sc0 sc1 // store D
_buffer_store_b16 v13, v10, s[sgprSrdD:sgprSrdD+3], 0, offen, offset:0,  sc0 sc1 // store D
	;; [unrolled: 1-line block ×60, first 2 shown]
s_nop 0                                            // 1 wait state required when next inst writes vgprs held by previous dwordx4 store inst
/* optSingleColVgpr=0 optSharedColVgpr=0 optSGPRUsage=BufferLoad_Edge_Mask optSrdIncForRow=0 */
s_sleep 3 // optimization: sync and wait
s_barrier

/******************************************/
/* Global Write Alpha Beta Edge Batch #3 (d1,d0,vc1,vc0) = */
/*    (11,0,1,0:vw1); (11,1,1,0:vw1); (11,2,1,0:vw1); (11,3,1,0:vw1); (11,0,2,0:vw1); (11,1,2,0:vw1); (11,2,2,0:vw1); (11,3,2,0:vw1); (11,0,3,0:vw1); (11,1,3,0:vw1); (11,2,3,0:vw1); (11,3,3,0:vw1) */
/******************************************/

/* calc coords, apply mask, and issue loads (if necessary) */
/* (d1,vc1,d0,vc0)=(11,1,0,0) */
_v_add_co_u32 v1, vcc, v1, 1                       // coord1.1: coord1Vgpr += d1*sg1*VW + vc1

/* Fix for UseInitialStridesCD, emitAddressSetupCode */
_v_add_u32 v2, v2, s[sgprStrideC1J]                // ROWINC- Move cinRowPtr to next row
_v_add_u32 v3, v3, s[sgprStrideD1J]                // Move coutRowPtr to next row
v_cmp_lt_u32 s[52:53], v0, s[sgprSizeI]            // coord0 < size0
v_cmp_lt_u32 s[56:57], v1, s[sgprSizeJ]            // coord1 < size1
s_and_b64 s[56:57], s[52:53], s[56:57]             // in0 && in1
_v_add_lshl_u32 v7, v2, v0, 0x1                    // scaleToBpe: accumulate d0 lower and *= bpe into Cin addr
v_cndmask_b32 v7, -1, v7, s[56:57]                 // LDC clip if OOB. offset
_v_add_lshl_u32 v6, v3, v0, 0x1                    // scaleToBpe: accumulate d0 lower and *= bpe into Cin addr
v_cndmask_b32 v6, -1, v6, s[56:57]                 // LDD clip if OOB. offset
/* (d1,vc1,d0,vc0)=(11,1,1,0) */
_v_add_co_u32 v4, vcc, v0, 64                      // coord0.1: coord0 += d0*sg0*VW + vc0
v_cmp_lt_u32 s[52:53], v4, s[sgprSizeI]            // coord0 < size0
v_cmp_lt_u32 s[56:57], v1, s[sgprSizeJ]            // coord1 < size1
s_and_b64 s[56:57], s[52:53], s[56:57]             // in0 && in1
_v_add_lshl_u32 v11, v2, v4, 0x1                   // scaleToBpe: accumulate d0 lower and *= bpe into Cin addr
v_cndmask_b32 v11, -1, v11, s[56:57]               // LDC clip if OOB. offset
_v_add_lshl_u32 v10, v3, v4, 0x1                   // scaleToBpe: accumulate d0 lower and *= bpe into Cin addr
v_cndmask_b32 v10, -1, v10, s[56:57]               // LDD clip if OOB. offset
/* (d1,vc1,d0,vc0)=(11,1,2,0) */
s_mov_b32 s52, 128                                 // coordOffset0 d0=2 vc0=0
_v_add_co_u32 v4, vcc, v0, s52                     // coord0.2: coord0 += d0*sg0*VW + vc0
v_cmp_lt_u32 s[52:53], v4, s[sgprSizeI]            // coord0 < size0
v_cmp_lt_u32 s[56:57], v1, s[sgprSizeJ]            // coord1 < size1
s_and_b64 s[56:57], s[52:53], s[56:57]             // in0 && in1
_v_add_lshl_u32 v15, v2, v4, 0x1                   // scaleToBpe: accumulate d0 lower and *= bpe into Cin addr
v_cndmask_b32 v15, -1, v15, s[56:57]               // LDC clip if OOB. offset
_v_add_lshl_u32 v14, v3, v4, 0x1                   // scaleToBpe: accumulate d0 lower and *= bpe into Cin addr
v_cndmask_b32 v14, -1, v14, s[56:57]               // LDD clip if OOB. offset
/* (d1,vc1,d0,vc0)=(11,1,3,0) */
s_mov_b32 s52, 192                                 // coordOffset0 d0=3 vc0=0
_v_add_co_u32 v4, vcc, v0, s52                     // coord0.2: coord0 += d0*sg0*VW + vc0
v_cmp_lt_u32 s[52:53], v4, s[sgprSizeI]            // coord0 < size0
v_cmp_lt_u32 s[56:57], v1, s[sgprSizeJ]            // coord1 < size1
s_and_b64 s[56:57], s[52:53], s[56:57]             // in0 && in1
_v_add_lshl_u32 v19, v2, v4, 0x1                   // scaleToBpe: accumulate d0 lower and *= bpe into Cin addr
v_cndmask_b32 v19, -1, v19, s[56:57]               // LDC clip if OOB. offset
_v_add_lshl_u32 v18, v3, v4, 0x1                   // scaleToBpe: accumulate d0 lower and *= bpe into Cin addr
v_cndmask_b32 v18, -1, v18, s[56:57]               // LDD clip if OOB. offset
/* (d1,vc1,d0,vc0)=(11,2,0,0) */
_v_add_co_u32 v1, vcc, v1, 1                       // coord1.1: coord1Vgpr += d1*sg1*VW + vc1

/* Fix for UseInitialStridesCD, emitAddressSetupCode */
_v_add_u32 v2, v2, s[sgprStrideC1J]                // ROWINC- Move cinRowPtr to next row
_v_add_u32 v3, v3, s[sgprStrideD1J]                // Move coutRowPtr to next row
v_cmp_lt_u32 s[52:53], v0, s[sgprSizeI]            // coord0 < size0
v_cmp_lt_u32 s[56:57], v1, s[sgprSizeJ]            // coord1 < size1
s_and_b64 s[56:57], s[52:53], s[56:57]             // in0 && in1
_v_add_lshl_u32 v23, v2, v0, 0x1                   // scaleToBpe: accumulate d0 lower and *= bpe into Cin addr
v_cndmask_b32 v23, -1, v23, s[56:57]               // LDC clip if OOB. offset
_v_add_lshl_u32 v22, v3, v0, 0x1                   // scaleToBpe: accumulate d0 lower and *= bpe into Cin addr
v_cndmask_b32 v22, -1, v22, s[56:57]               // LDD clip if OOB. offset
/* (d1,vc1,d0,vc0)=(11,2,1,0) */
_v_add_co_u32 v4, vcc, v0, 64                      // coord0.1: coord0 += d0*sg0*VW + vc0
v_cmp_lt_u32 s[52:53], v4, s[sgprSizeI]            // coord0 < size0
v_cmp_lt_u32 s[56:57], v1, s[sgprSizeJ]            // coord1 < size1
s_and_b64 s[56:57], s[52:53], s[56:57]             // in0 && in1
_v_add_lshl_u32 v27, v2, v4, 0x1                   // scaleToBpe: accumulate d0 lower and *= bpe into Cin addr
v_cndmask_b32 v27, -1, v27, s[56:57]               // LDC clip if OOB. offset
_v_add_lshl_u32 v26, v3, v4, 0x1                   // scaleToBpe: accumulate d0 lower and *= bpe into Cin addr
v_cndmask_b32 v26, -1, v26, s[56:57]               // LDD clip if OOB. offset
/* (d1,vc1,d0,vc0)=(11,2,2,0) */
s_mov_b32 s52, 128                                 // coordOffset0 d0=2 vc0=0
_v_add_co_u32 v4, vcc, v0, s52                     // coord0.2: coord0 += d0*sg0*VW + vc0
v_cmp_lt_u32 s[52:53], v4, s[sgprSizeI]            // coord0 < size0
v_cmp_lt_u32 s[56:57], v1, s[sgprSizeJ]            // coord1 < size1
s_and_b64 s[56:57], s[52:53], s[56:57]             // in0 && in1
_v_add_lshl_u32 v31, v2, v4, 0x1                   // scaleToBpe: accumulate d0 lower and *= bpe into Cin addr
v_cndmask_b32 v31, -1, v31, s[56:57]               // LDC clip if OOB. offset
_v_add_lshl_u32 v30, v3, v4, 0x1                   // scaleToBpe: accumulate d0 lower and *= bpe into Cin addr
v_cndmask_b32 v30, -1, v30, s[56:57]               // LDD clip if OOB. offset
/* (d1,vc1,d0,vc0)=(11,2,3,0) */
s_mov_b32 s52, 192                                 // coordOffset0 d0=3 vc0=0
_v_add_co_u32 v4, vcc, v0, s52                     // coord0.2: coord0 += d0*sg0*VW + vc0
v_cmp_lt_u32 s[52:53], v4, s[sgprSizeI]            // coord0 < size0
v_cmp_lt_u32 s[56:57], v1, s[sgprSizeJ]            // coord1 < size1
s_and_b64 s[56:57], s[52:53], s[56:57]             // in0 && in1
_v_add_lshl_u32 v35, v2, v4, 0x1                   // scaleToBpe: accumulate d0 lower and *= bpe into Cin addr
v_cndmask_b32 v35, -1, v35, s[56:57]               // LDC clip if OOB. offset
_v_add_lshl_u32 v34, v3, v4, 0x1                   // scaleToBpe: accumulate d0 lower and *= bpe into Cin addr
v_cndmask_b32 v34, -1, v34, s[56:57]               // LDD clip if OOB. offset
/* (d1,vc1,d0,vc0)=(11,3,0,0) */
_v_add_co_u32 v1, vcc, v1, 1                       // coord1.1: coord1Vgpr += d1*sg1*VW + vc1

/* Fix for UseInitialStridesCD, emitAddressSetupCode */
_v_add_u32 v2, v2, s[sgprStrideC1J]                // ROWINC- Move cinRowPtr to next row
_v_add_u32 v3, v3, s[sgprStrideD1J]                // Move coutRowPtr to next row
v_cmp_lt_u32 s[52:53], v0, s[sgprSizeI]            // coord0 < size0
v_cmp_lt_u32 s[56:57], v1, s[sgprSizeJ]            // coord1 < size1
s_and_b64 s[56:57], s[52:53], s[56:57]             // in0 && in1
_v_add_lshl_u32 v39, v2, v0, 0x1                   // scaleToBpe: accumulate d0 lower and *= bpe into Cin addr
v_cndmask_b32 v39, -1, v39, s[56:57]               // LDC clip if OOB. offset
_v_add_lshl_u32 v38, v3, v0, 0x1                   // scaleToBpe: accumulate d0 lower and *= bpe into Cin addr
v_cndmask_b32 v38, -1, v38, s[56:57]               // LDD clip if OOB. offset
/* (d1,vc1,d0,vc0)=(11,3,1,0) */
_v_add_co_u32 v4, vcc, v0, 64                      // coord0.1: coord0 += d0*sg0*VW + vc0
v_cmp_lt_u32 s[52:53], v4, s[sgprSizeI]            // coord0 < size0
v_cmp_lt_u32 s[56:57], v1, s[sgprSizeJ]            // coord1 < size1
s_and_b64 s[56:57], s[52:53], s[56:57]             // in0 && in1
_v_add_lshl_u32 v43, v2, v4, 0x1                   // scaleToBpe: accumulate d0 lower and *= bpe into Cin addr
v_cndmask_b32 v43, -1, v43, s[56:57]               // LDC clip if OOB. offset
_v_add_lshl_u32 v42, v3, v4, 0x1                   // scaleToBpe: accumulate d0 lower and *= bpe into Cin addr
v_cndmask_b32 v42, -1, v42, s[56:57]               // LDD clip if OOB. offset
/* (d1,vc1,d0,vc0)=(11,3,2,0) */
s_mov_b32 s52, 128                                 // coordOffset0 d0=2 vc0=0
_v_add_co_u32 v4, vcc, v0, s52                     // coord0.2: coord0 += d0*sg0*VW + vc0
v_cmp_lt_u32 s[52:53], v4, s[sgprSizeI]            // coord0 < size0
v_cmp_lt_u32 s[56:57], v1, s[sgprSizeJ]            // coord1 < size1
s_and_b64 s[56:57], s[52:53], s[56:57]             // in0 && in1
_v_add_lshl_u32 v47, v2, v4, 0x1                   // scaleToBpe: accumulate d0 lower and *= bpe into Cin addr
v_cndmask_b32 v47, -1, v47, s[56:57]               // LDC clip if OOB. offset
_v_add_lshl_u32 v46, v3, v4, 0x1                   // scaleToBpe: accumulate d0 lower and *= bpe into Cin addr
v_cndmask_b32 v46, -1, v46, s[56:57]               // LDD clip if OOB. offset
/* (d1,vc1,d0,vc0)=(11,3,3,0) */
s_mov_b32 s52, 192                                 // coordOffset0 d0=3 vc0=0
_v_add_co_u32 v4, vcc, v0, s52                     // coord0.2: coord0 += d0*sg0*VW + vc0
v_cmp_lt_u32 s[52:53], v4, s[sgprSizeI]            // coord0 < size0
v_cmp_lt_u32 s[56:57], v1, s[sgprSizeJ]            // coord1 < size1
s_and_b64 s[56:57], s[52:53], s[56:57]             // in0 && in1
_v_add_lshl_u32 v51, v2, v4, 0x1                   // scaleToBpe: accumulate d0 lower and *= bpe into Cin addr
v_cndmask_b32 v51, -1, v51, s[56:57]               // LDC clip if OOB. offset
_v_add_lshl_u32 v50, v3, v4, 0x1                   // scaleToBpe: accumulate d0 lower and *= bpe into Cin addr
v_cndmask_b32 v50, -1, v50, s[56:57]               // LDD clip if OOB. offset
_buffer_load_d16_b16 v8, v7, s[sgprSrdC:sgprSrdC+3], 0, offen offset:0,  sc0 sc1 // load C for beta calc
_buffer_load_d16_b16 v12, v11, s[sgprSrdC:sgprSrdC+3], 0, offen offset:0,  sc0 sc1 // load C for beta calc
_buffer_load_d16_b16 v16, v15, s[sgprSrdC:sgprSrdC+3], 0, offen offset:0,  sc0 sc1 // load C for beta calc
_buffer_load_d16_b16 v20, v19, s[sgprSrdC:sgprSrdC+3], 0, offen offset:0,  sc0 sc1 // load C for beta calc
_buffer_load_d16_b16 v24, v23, s[sgprSrdC:sgprSrdC+3], 0, offen offset:0,  sc0 sc1 // load C for beta calc
_buffer_load_d16_b16 v28, v27, s[sgprSrdC:sgprSrdC+3], 0, offen offset:0,  sc0 sc1 // load C for beta calc
_buffer_load_d16_b16 v32, v31, s[sgprSrdC:sgprSrdC+3], 0, offen offset:0,  sc0 sc1 // load C for beta calc
_buffer_load_d16_b16 v36, v35, s[sgprSrdC:sgprSrdC+3], 0, offen offset:0,  sc0 sc1 // load C for beta calc
_buffer_load_d16_b16 v40, v39, s[sgprSrdC:sgprSrdC+3], 0, offen offset:0,  sc0 sc1 // load C for beta calc
_buffer_load_d16_b16 v44, v43, s[sgprSrdC:sgprSrdC+3], 0, offen offset:0,  sc0 sc1 // load C for beta calc
_buffer_load_d16_b16 v48, v47, s[sgprSrdC:sgprSrdC+3], 0, offen offset:0,  sc0 sc1 // load C for beta calc
_buffer_load_d16_b16 v52, v51, s[sgprSrdC:sgprSrdC+3], 0, offen offset:0,  sc0 sc1 // load C for beta calc
s_sleep 3 // optimization: sync and wait
s_barrier
v_accvgpr_read_b32 v[vgprValuC+9], acc141 // copy acc to vreg[180]
v_accvgpr_read_b32 v[vgprValuC+13], acc157 // copy acc to vreg[181]
v_accvgpr_read_b32 v[vgprValuC+17], acc173 // copy acc to vreg[182]
v_accvgpr_read_b32 v[vgprValuC+21], acc189 // copy acc to vreg[183]
v_accvgpr_read_b32 v[vgprValuC+25], acc142 // copy acc to vreg[184]
v_accvgpr_read_b32 v[vgprValuC+29], acc158 // copy acc to vreg[185]
v_accvgpr_read_b32 v[vgprValuC+33], acc174 // copy acc to vreg[186]
v_accvgpr_read_b32 v[vgprValuC+37], acc190 // copy acc to vreg[187]
v_accvgpr_read_b32 v[vgprValuC+41], acc143 // copy acc to vreg[188]
v_accvgpr_read_b32 v[vgprValuC+45], acc159 // copy acc to vreg[189]
v_accvgpr_read_b32 v[vgprValuC+49], acc175 // copy acc to vreg[190]
v_accvgpr_read_b32 v[vgprValuC+53], acc191 // copy acc to vreg[191]
s_nop 1                                            // 2 wait states required before reading vgpr

/* rC *= alpha batchElements=[(11, 0, 1, 0), (11, 1, 1, 0), (11, 2, 1, 0), (11, 3, 1, 0), (11, 0, 2, 0), (11, 1, 2, 0), (11, 2, 2, 0), (11, 3, 2, 0), (11, 0, 3, 0), (11, 1, 3, 0), (11, 2, 3, 0), (11, 3, 3, 0)] */
v_mul_f32 v[vgprValuC+9], s[sgprAlpha], v[vgprValuC+9] // *= alpha
v_mul_f32 v[vgprValuC+13], s[sgprAlpha], v[vgprValuC+13] // *= alpha
	;; [unrolled: 1-line block ×12, first 2 shown]
s_waitcnt vmcnt(0)                                 // wait C

/* apply mask, calc new C and issue writes */
v_fma_mix_f32 v[vgprValuC+9], s[sgprBeta], v8, v[vgprValuC+9], op_sel:[0,0,0] op_sel_hi:[0,1,0] // //C*=beta
v_cvt_f16_f32 v[vgprValuC+9], v[vgprValuC+9]       // convert C to fp16
v_fma_mix_f32 v[vgprValuC+13], s[sgprBeta], v12, v[vgprValuC+13], op_sel:[0,0,0] op_sel_hi:[0,1,0] // //C*=beta
v_cvt_f16_f32 v[vgprValuC+13], v[vgprValuC+13]     // convert C to fp16
v_fma_mix_f32 v[vgprValuC+17], s[sgprBeta], v16, v[vgprValuC+17], op_sel:[0,0,0] op_sel_hi:[0,1,0] // //C*=beta
v_cvt_f16_f32 v[vgprValuC+17], v[vgprValuC+17]     // convert C to fp16
	;; [unrolled: 2-line block ×11, first 2 shown]
_buffer_store_b16 v9, v6, s[sgprSrdD:sgprSrdD+3], 0, offen, offset:0,  sc0 sc1 // store D
_buffer_store_b16 v13, v10, s[sgprSrdD:sgprSrdD+3], 0, offen, offset:0,  sc0 sc1 // store D
	;; [unrolled: 1-line block ×12, first 2 shown]
s_nop 0                                            // 1 wait state required when next inst writes vgprs held by previous dwordx4 store inst
s_branch label_GW_End_42                           // jump to end
label_GW_End_42:

label_0047:  /// KernelEnd
s_endpgm                                           // Kernel End

